;; amdgpu-corpus repo=ROCm/rocFFT kind=compiled arch=gfx906 opt=O3
	.text
	.amdgcn_target "amdgcn-amd-amdhsa--gfx906"
	.amdhsa_code_object_version 6
	.protected	bluestein_single_back_len1573_dim1_sp_op_CI_CI ; -- Begin function bluestein_single_back_len1573_dim1_sp_op_CI_CI
	.globl	bluestein_single_back_len1573_dim1_sp_op_CI_CI
	.p2align	8
	.type	bluestein_single_back_len1573_dim1_sp_op_CI_CI,@function
bluestein_single_back_len1573_dim1_sp_op_CI_CI: ; @bluestein_single_back_len1573_dim1_sp_op_CI_CI
; %bb.0:
	s_load_dwordx4 s[0:3], s[4:5], 0x28
	v_mul_u32_u24_e32 v1, 0x1cb, v0
	v_add_u32_sdwa v64, s6, v1 dst_sel:DWORD dst_unused:UNUSED_PAD src0_sel:DWORD src1_sel:WORD_1
	v_mov_b32_e32 v65, 0
	s_waitcnt lgkmcnt(0)
	v_cmp_gt_u64_e32 vcc, s[0:1], v[64:65]
	s_and_saveexec_b64 s[0:1], vcc
	s_cbranch_execz .LBB0_15
; %bb.1:
	s_load_dwordx2 s[10:11], s[4:5], 0x0
	s_load_dwordx2 s[8:9], s[4:5], 0x38
	s_movk_i32 s0, 0x8f
	v_mul_lo_u16_sdwa v1, v1, s0 dst_sel:DWORD dst_unused:UNUSED_PAD src0_sel:WORD_1 src1_sel:DWORD
	v_sub_u16_e32 v74, v0, v1
	s_movk_i32 s0, 0x79
	v_cmp_gt_u16_e64 s[0:1], s0, v74
	v_lshlrev_b32_e32 v73, 3, v74
	s_and_saveexec_b64 s[6:7], s[0:1]
	s_cbranch_execz .LBB0_3
; %bb.2:
	s_load_dwordx2 s[12:13], s[4:5], 0x18
	s_waitcnt lgkmcnt(0)
	s_load_dwordx4 s[12:15], s[12:13], 0x0
	s_waitcnt lgkmcnt(0)
	v_mad_u64_u32 v[0:1], s[16:17], s14, v64, 0
	v_mad_u64_u32 v[2:3], s[16:17], s12, v74, 0
	;; [unrolled: 1-line block ×4, first 2 shown]
	v_mov_b32_e32 v1, v4
	v_lshlrev_b64 v[0:1], 3, v[0:1]
	v_mov_b32_e32 v3, v5
	v_mov_b32_e32 v6, s3
	v_lshlrev_b64 v[2:3], 3, v[2:3]
	v_add_co_u32_e32 v0, vcc, s2, v0
	v_addc_co_u32_e32 v1, vcc, v6, v1, vcc
	v_add_co_u32_e32 v0, vcc, v0, v2
	v_addc_co_u32_e32 v1, vcc, v1, v3, vcc
	v_mov_b32_e32 v2, s11
	v_add_co_u32_e32 v40, vcc, s10, v73
	s_mul_i32 s2, s13, 0x3c8
	s_mul_hi_u32 s3, s12, 0x3c8
	v_addc_co_u32_e32 v41, vcc, 0, v2, vcc
	s_add_i32 s2, s3, s2
	s_mul_i32 s3, s12, 0x3c8
	v_mov_b32_e32 v3, s2
	v_add_co_u32_e32 v2, vcc, s3, v0
	v_addc_co_u32_e32 v3, vcc, v1, v3, vcc
	v_mov_b32_e32 v5, s2
	v_add_co_u32_e32 v4, vcc, s3, v2
	v_addc_co_u32_e32 v5, vcc, v3, v5, vcc
	v_mov_b32_e32 v7, s2
	v_add_co_u32_e32 v6, vcc, s3, v4
	v_addc_co_u32_e32 v7, vcc, v5, v7, vcc
	global_load_dwordx2 v[8:9], v[0:1], off
	global_load_dwordx2 v[10:11], v[2:3], off
	;; [unrolled: 1-line block ×4, first 2 shown]
	global_load_dwordx2 v[16:17], v73, s[10:11]
	global_load_dwordx2 v[18:19], v73, s[10:11] offset:968
	global_load_dwordx2 v[20:21], v73, s[10:11] offset:1936
	;; [unrolled: 1-line block ×3, first 2 shown]
	v_mov_b32_e32 v1, s2
	v_add_co_u32_e32 v0, vcc, s3, v6
	v_addc_co_u32_e32 v1, vcc, v7, v1, vcc
	global_load_dwordx2 v[2:3], v[0:1], off
	global_load_dwordx2 v[4:5], v73, s[10:11] offset:3872
	v_mov_b32_e32 v6, s2
	v_add_co_u32_e32 v0, vcc, s3, v0
	v_addc_co_u32_e32 v1, vcc, v1, v6, vcc
	s_movk_i32 s12, 0x1000
	v_add_co_u32_e32 v24, vcc, s12, v40
	v_addc_co_u32_e32 v25, vcc, 0, v41, vcc
	global_load_dwordx2 v[6:7], v[0:1], off
	v_mov_b32_e32 v26, s2
	v_add_co_u32_e32 v0, vcc, s3, v0
	v_addc_co_u32_e32 v1, vcc, v1, v26, vcc
	global_load_dwordx2 v[26:27], v[0:1], off
	v_mov_b32_e32 v28, s2
	;; [unrolled: 4-line block ×3, first 2 shown]
	v_add_co_u32_e32 v0, vcc, s3, v0
	v_addc_co_u32_e32 v1, vcc, v1, v30, vcc
	global_load_dwordx2 v[30:31], v[0:1], off
	global_load_dwordx2 v[32:33], v[24:25], off offset:744
	global_load_dwordx2 v[34:35], v[24:25], off offset:1712
	;; [unrolled: 1-line block ×4, first 2 shown]
	v_mov_b32_e32 v24, s2
	v_add_co_u32_e32 v0, vcc, s3, v0
	v_addc_co_u32_e32 v1, vcc, v1, v24, vcc
	s_movk_i32 s12, 0x2000
	v_add_co_u32_e32 v40, vcc, s12, v40
	v_addc_co_u32_e32 v41, vcc, 0, v41, vcc
	global_load_dwordx2 v[24:25], v[0:1], off
	v_mov_b32_e32 v42, s2
	v_add_co_u32_e32 v0, vcc, s3, v0
	v_addc_co_u32_e32 v1, vcc, v1, v42, vcc
	global_load_dwordx2 v[42:43], v[40:41], off offset:520
	global_load_dwordx2 v[44:45], v[0:1], off
	global_load_dwordx2 v[46:47], v[40:41], off offset:1488
	v_mov_b32_e32 v48, s2
	v_add_co_u32_e32 v0, vcc, s3, v0
	v_addc_co_u32_e32 v1, vcc, v1, v48, vcc
	global_load_dwordx2 v[48:49], v[0:1], off
	global_load_dwordx2 v[50:51], v[40:41], off offset:2456
	v_mov_b32_e32 v52, s2
	v_add_co_u32_e32 v0, vcc, s3, v0
	v_addc_co_u32_e32 v1, vcc, v1, v52, vcc
	global_load_dwordx2 v[52:53], v[0:1], off
	global_load_dwordx2 v[54:55], v[40:41], off offset:3424
	s_waitcnt vmcnt(21)
	v_mul_f32_e32 v0, v9, v17
	v_mul_f32_e32 v1, v8, v17
	v_fmac_f32_e32 v0, v8, v16
	v_fma_f32 v1, v9, v16, -v1
	s_waitcnt vmcnt(20)
	v_mul_f32_e32 v8, v11, v19
	v_mul_f32_e32 v9, v10, v19
	v_fmac_f32_e32 v8, v10, v18
	v_fma_f32 v9, v11, v18, -v9
	ds_write2_b64 v73, v[0:1], v[8:9] offset1:121
	s_waitcnt vmcnt(19)
	v_mul_f32_e32 v0, v13, v21
	v_mul_f32_e32 v1, v12, v21
	s_waitcnt vmcnt(18)
	v_mul_f32_e32 v8, v15, v23
	v_mul_f32_e32 v9, v14, v23
	v_fmac_f32_e32 v0, v12, v20
	v_fma_f32 v1, v13, v20, -v1
	v_fmac_f32_e32 v8, v14, v22
	v_fma_f32 v9, v15, v22, -v9
	v_add_u32_e32 v10, 0x400, v73
	ds_write2_b64 v10, v[0:1], v[8:9] offset0:114 offset1:235
	s_waitcnt vmcnt(16)
	v_mul_f32_e32 v0, v3, v5
	v_mul_f32_e32 v1, v2, v5
	v_fmac_f32_e32 v0, v2, v4
	v_fma_f32 v1, v3, v4, -v1
	v_add_u32_e32 v4, 0xc00, v73
	s_waitcnt vmcnt(11)
	v_mul_f32_e32 v2, v7, v33
	v_mul_f32_e32 v3, v6, v33
	v_fmac_f32_e32 v2, v6, v32
	v_fma_f32 v3, v7, v32, -v3
	ds_write2_b64 v4, v[0:1], v[2:3] offset0:100 offset1:221
	s_waitcnt vmcnt(10)
	v_mul_f32_e32 v0, v27, v35
	v_mul_f32_e32 v1, v26, v35
	s_waitcnt vmcnt(9)
	v_mul_f32_e32 v2, v29, v37
	v_mul_f32_e32 v3, v28, v37
	v_fmac_f32_e32 v0, v26, v34
	v_fma_f32 v1, v27, v34, -v1
	v_fmac_f32_e32 v2, v28, v36
	v_fma_f32 v3, v29, v36, -v3
	v_add_u32_e32 v4, 0x1400, v73
	ds_write2_b64 v4, v[0:1], v[2:3] offset0:86 offset1:207
	s_waitcnt vmcnt(8)
	v_mul_f32_e32 v0, v31, v39
	v_mul_f32_e32 v1, v30, v39
	v_fmac_f32_e32 v0, v30, v38
	s_waitcnt vmcnt(6)
	v_mul_f32_e32 v2, v25, v43
	v_mul_f32_e32 v3, v24, v43
	v_fma_f32 v1, v31, v38, -v1
	v_fmac_f32_e32 v2, v24, v42
	v_fma_f32 v3, v25, v42, -v3
	v_add_u32_e32 v4, 0x1c00, v73
	ds_write2_b64 v4, v[0:1], v[2:3] offset0:72 offset1:193
	s_waitcnt vmcnt(4)
	v_mul_f32_e32 v0, v45, v47
	v_mul_f32_e32 v1, v44, v47
	s_waitcnt vmcnt(2)
	v_mul_f32_e32 v2, v49, v51
	v_mul_f32_e32 v3, v48, v51
	v_fmac_f32_e32 v0, v44, v46
	v_fma_f32 v1, v45, v46, -v1
	v_fmac_f32_e32 v2, v48, v50
	v_fma_f32 v3, v49, v50, -v3
	v_add_u32_e32 v4, 0x2400, v73
	ds_write2_b64 v4, v[0:1], v[2:3] offset0:58 offset1:179
	s_waitcnt vmcnt(0)
	v_mul_f32_e32 v0, v53, v55
	v_mul_f32_e32 v1, v52, v55
	v_fmac_f32_e32 v0, v52, v54
	v_fma_f32 v1, v53, v54, -v1
	ds_write_b64 v73, v[0:1] offset:11616
.LBB0_3:
	s_or_b64 exec, exec, s[6:7]
	s_load_dwordx2 s[6:7], s[4:5], 0x20
	s_load_dwordx2 s[2:3], s[4:5], 0x8
	v_mov_b32_e32 v4, 0
	v_mov_b32_e32 v5, 0
	s_waitcnt lgkmcnt(0)
	s_barrier
	s_waitcnt lgkmcnt(0)
                                        ; implicit-def: $vgpr18
                                        ; implicit-def: $vgpr12
                                        ; implicit-def: $vgpr8
                                        ; implicit-def: $vgpr0
                                        ; implicit-def: $vgpr22
                                        ; implicit-def: $vgpr26
	s_and_saveexec_b64 s[4:5], s[0:1]
	s_cbranch_execz .LBB0_5
; %bb.4:
	v_add_u32_e32 v0, 0x400, v73
	ds_read2_b64 v[24:27], v0 offset0:114 offset1:235
	v_add_u32_e32 v0, 0xc00, v73
	ds_read2_b64 v[20:23], v0 offset0:100 offset1:221
	;; [unrolled: 2-line block ×4, first 2 shown]
	v_add_u32_e32 v0, 0x2400, v73
	ds_read2_b64 v[4:7], v73 offset1:121
	ds_read2_b64 v[8:11], v0 offset0:58 offset1:179
	ds_read_b64 v[0:1], v73 offset:11616
.LBB0_5:
	s_or_b64 exec, exec, s[4:5]
	s_waitcnt lgkmcnt(0)
	v_sub_f32_e32 v49, v7, v1
	v_mul_f32_e32 v40, 0xbeedf032, v49
	v_sub_f32_e32 v52, v25, v11
	v_add_f32_e32 v28, v0, v6
	v_sub_f32_e32 v53, v6, v0
	v_mov_b32_e32 v2, v40
	v_mul_f32_e32 v41, 0xbf52af12, v52
	v_add_f32_e32 v29, v1, v7
	s_mov_b32 s12, 0x3f62ad3f
	v_mul_f32_e32 v42, 0xbeedf032, v53
	v_fmac_f32_e32 v2, 0x3f62ad3f, v28
	v_add_f32_e32 v30, v10, v24
	v_sub_f32_e32 v56, v24, v10
	v_mov_b32_e32 v32, v41
	v_add_f32_e32 v2, v2, v4
	v_fma_f32 v3, v29, s12, -v42
	s_mov_b32 s13, 0x3f116cb1
	v_add_f32_e32 v31, v11, v25
	v_mul_f32_e32 v44, 0xbf52af12, v56
	v_fmac_f32_e32 v32, 0x3f116cb1, v30
	v_sub_f32_e32 v55, v27, v9
	v_add_f32_e32 v3, v3, v5
	v_add_f32_e32 v2, v32, v2
	v_fma_f32 v32, v31, s13, -v44
	v_mul_f32_e32 v43, 0xbf7e222b, v55
	v_add_f32_e32 v3, v32, v3
	v_add_f32_e32 v32, v8, v26
	v_sub_f32_e32 v57, v26, v8
	v_mov_b32_e32 v34, v43
	v_add_f32_e32 v33, v9, v27
	s_mov_b32 s15, 0x3df6dbef
	v_mul_f32_e32 v46, 0xbf7e222b, v57
	v_fmac_f32_e32 v34, 0x3df6dbef, v32
	v_sub_f32_e32 v58, v21, v15
	v_add_f32_e32 v2, v34, v2
	v_fma_f32 v34, v33, s15, -v46
	v_mul_f32_e32 v45, 0xbf6f5d39, v58
	v_add_f32_e32 v3, v34, v3
	v_add_f32_e32 v34, v14, v20
	v_sub_f32_e32 v59, v20, v14
	v_mov_b32_e32 v35, v45
	s_mov_b32 s14, 0xbeb58ec6
	v_add_f32_e32 v36, v15, v21
	v_mul_f32_e32 v48, 0xbf6f5d39, v59
	v_fmac_f32_e32 v35, 0xbeb58ec6, v34
	v_sub_f32_e32 v60, v23, v13
	v_add_f32_e32 v2, v35, v2
	v_fma_f32 v35, v36, s14, -v48
	v_mul_f32_e32 v47, 0xbf29c268, v60
	v_add_f32_e32 v3, v35, v3
	v_add_f32_e32 v35, v12, v22
	v_sub_f32_e32 v69, v22, v12
	v_mov_b32_e32 v37, v47
	s_mov_b32 s17, 0xbf3f9e67
	v_add_f32_e32 v38, v13, v23
	v_mul_f32_e32 v51, 0xbf29c268, v69
	v_fmac_f32_e32 v37, 0xbf3f9e67, v35
	v_sub_f32_e32 v67, v17, v19
	v_add_f32_e32 v2, v37, v2
	v_fma_f32 v37, v38, s17, -v51
	v_mul_f32_e32 v50, 0xbe750f2a, v67
	v_add_f32_e32 v3, v37, v3
	v_add_f32_e32 v37, v18, v16
	v_mov_b32_e32 v39, v50
	v_fmac_f32_e32 v39, 0xbf788fa5, v37
	v_sub_f32_e32 v72, v16, v18
	s_mov_b32 s16, 0xbf788fa5
	v_add_f32_e32 v65, v39, v2
	v_add_f32_e32 v39, v19, v17
	v_mul_f32_e32 v54, 0xbe750f2a, v72
	v_fma_f32 v2, v39, s16, -v54
	v_mul_f32_e32 v61, 0xbf52af12, v49
	v_add_f32_e32 v66, v2, v3
	v_mov_b32_e32 v2, v61
	v_mul_f32_e32 v62, 0xbf6f5d39, v52
	v_fmac_f32_e32 v2, 0x3f116cb1, v28
	v_mov_b32_e32 v3, v62
	v_add_f32_e32 v2, v2, v4
	v_fmac_f32_e32 v3, 0xbeb58ec6, v30
	v_mul_f32_e32 v76, 0xbf52af12, v53
	v_add_f32_e32 v2, v3, v2
	v_fma_f32 v3, v29, s13, -v76
	v_mul_f32_e32 v77, 0xbf6f5d39, v56
	v_add_f32_e32 v3, v3, v5
	v_fma_f32 v63, v31, s14, -v77
	v_add_f32_e32 v3, v63, v3
	v_mul_f32_e32 v63, 0xbe750f2a, v55
	v_mov_b32_e32 v68, v63
	v_fmac_f32_e32 v68, 0xbf788fa5, v32
	v_mul_f32_e32 v78, 0xbe750f2a, v57
	v_add_f32_e32 v2, v68, v2
	v_fma_f32 v68, v33, s16, -v78
	v_add_f32_e32 v3, v68, v3
	v_mul_f32_e32 v68, 0x3f29c268, v58
	v_mov_b32_e32 v70, v68
	v_fmac_f32_e32 v70, 0xbf3f9e67, v34
	;; [unrolled: 7-line block ×3, first 2 shown]
	v_mul_f32_e32 v80, 0x3f7e222b, v69
	v_add_f32_e32 v2, v71, v2
	v_fma_f32 v71, v38, s15, -v80
	v_add_f32_e32 v3, v71, v3
	v_mul_f32_e32 v71, 0x3eedf032, v67
	v_mov_b32_e32 v75, v71
	v_mul_f32_e32 v81, 0x3eedf032, v72
	v_fmac_f32_e32 v75, 0x3f62ad3f, v37
	v_fma_f32 v82, v39, s12, -v81
	v_add_f32_e32 v2, v75, v2
	v_add_f32_e32 v3, v82, v3
	v_mul_lo_u16_e32 v75, 13, v74
	s_barrier
	s_and_saveexec_b64 s[4:5], s[0:1]
	s_cbranch_execz .LBB0_7
; %bb.6:
	v_add_f32_e32 v7, v7, v5
	v_add_f32_e32 v6, v6, v4
	;; [unrolled: 1-line block ×6, first 2 shown]
	v_mul_f32_e32 v24, 0xbe750f2a, v53
	v_add_f32_e32 v7, v21, v7
	v_add_f32_e32 v6, v20, v6
	v_mov_b32_e32 v20, v24
	v_mul_f32_e32 v21, 0x3eedf032, v56
	v_add_f32_e32 v6, v22, v6
	v_fmac_f32_e32 v20, 0xbf788fa5, v29
	v_mov_b32_e32 v22, v21
	v_add_f32_e32 v20, v20, v5
	v_fmac_f32_e32 v22, 0x3f62ad3f, v31
	v_add_f32_e32 v20, v22, v20
	v_mul_f32_e32 v22, 0xbf29c268, v57
	v_add_f32_e32 v7, v23, v7
	v_mov_b32_e32 v23, v22
	v_fmac_f32_e32 v23, 0xbf3f9e67, v33
	v_add_f32_e32 v20, v23, v20
	v_mul_f32_e32 v23, 0x3f52af12, v59
	v_add_f32_e32 v6, v16, v6
	v_mov_b32_e32 v25, v23
	v_add_f32_e32 v6, v18, v6
	v_mul_f32_e32 v18, 0xbf6f5d39, v69
	v_fmac_f32_e32 v25, 0x3f116cb1, v36
	v_mov_b32_e32 v16, v18
	v_add_f32_e32 v20, v25, v20
	v_add_f32_e32 v7, v17, v7
	v_fmac_f32_e32 v16, 0xbeb58ec6, v38
	v_add_f32_e32 v7, v19, v7
	v_add_f32_e32 v16, v16, v20
	v_mul_f32_e32 v20, 0xbe750f2a, v49
	v_fma_f32 v17, v28, s16, -v20
	v_add_f32_e32 v7, v13, v7
	v_mul_f32_e32 v25, 0x3eedf032, v52
	v_add_f32_e32 v17, v17, v4
	v_add_f32_e32 v13, v15, v7
	;; [unrolled: 1-line block ×3, first 2 shown]
	v_fma_f32 v7, v30, s12, -v25
	v_mul_f32_e32 v26, 0xbf29c268, v55
	v_add_f32_e32 v6, v14, v6
	v_add_f32_e32 v7, v7, v17
	v_fma_f32 v12, v32, s17, -v26
	v_mul_f32_e32 v27, 0x3f52af12, v58
	v_add_f32_e32 v7, v12, v7
	v_fma_f32 v12, v34, s13, -v27
	v_add_f32_e32 v6, v8, v6
	v_mul_f32_e32 v82, 0xbf6f5d39, v60
	v_add_f32_e32 v12, v12, v7
	v_add_f32_e32 v8, v10, v6
	v_fma_f32 v6, v35, s14, -v82
	v_mul_f32_e32 v83, 0x3f7e222b, v67
	v_add_f32_e32 v6, v6, v12
	v_fma_f32 v10, v37, s15, -v83
	v_mul_f32_e32 v84, 0xbf29c268, v53
	v_add_f32_e32 v9, v9, v13
	v_add_f32_e32 v6, v10, v6
	v_mov_b32_e32 v10, v84
	v_mul_f32_e32 v85, 0x3f7e222b, v56
	v_add_f32_e32 v9, v11, v9
	v_fmac_f32_e32 v10, 0xbf3f9e67, v29
	v_add_f32_e32 v0, v0, v8
	v_mov_b32_e32 v8, v85
	v_mul_f32_e32 v86, 0xbf52af12, v57
	v_add_f32_e32 v10, v10, v5
	v_add_f32_e32 v1, v1, v9
	v_fmac_f32_e32 v8, 0x3df6dbef, v31
	v_mov_b32_e32 v9, v86
	v_add_f32_e32 v8, v8, v10
	v_fmac_f32_e32 v9, 0x3f116cb1, v33
	v_mul_f32_e32 v87, 0x3e750f2a, v59
	v_add_f32_e32 v8, v9, v8
	v_mov_b32_e32 v9, v87
	v_fmac_f32_e32 v9, 0xbf788fa5, v36
	v_mul_f32_e32 v88, 0x3eedf032, v69
	v_add_f32_e32 v8, v9, v8
	v_mov_b32_e32 v9, v88
	v_fmac_f32_e32 v9, 0x3f62ad3f, v38
	v_mul_f32_e32 v89, 0xbf29c268, v49
	v_add_f32_e32 v8, v9, v8
	v_fma_f32 v9, v28, s17, -v89
	v_mul_f32_e32 v90, 0x3f7e222b, v52
	v_add_f32_e32 v9, v9, v4
	v_fma_f32 v10, v30, s15, -v90
	;; [unrolled: 3-line block ×5, first 2 shown]
	v_mul_f32_e32 v94, 0xbf6f5d39, v72
	v_add_f32_e32 v10, v10, v9
	v_mov_b32_e32 v9, v94
	v_fmac_f32_e32 v9, 0xbeb58ec6, v39
	v_mul_f32_e32 v95, 0xbf6f5d39, v67
	v_add_f32_e32 v9, v9, v8
	v_fma_f32 v8, v37, s14, -v95
	v_mul_f32_e32 v96, 0xbf6f5d39, v53
	v_add_f32_e32 v8, v8, v10
	v_mov_b32_e32 v10, v96
	v_mul_f32_e32 v97, 0x3f29c268, v56
	v_fmac_f32_e32 v10, 0xbeb58ec6, v29
	v_mov_b32_e32 v11, v97
	v_add_f32_e32 v10, v10, v5
	v_fmac_f32_e32 v11, 0xbf3f9e67, v31
	v_mul_f32_e32 v98, 0x3eedf032, v57
	v_add_f32_e32 v10, v11, v10
	v_mov_b32_e32 v11, v98
	v_fmac_f32_e32 v11, 0x3f62ad3f, v33
	v_mul_f32_e32 v99, 0xbf7e222b, v59
	v_add_f32_e32 v10, v11, v10
	v_mov_b32_e32 v11, v99
	;; [unrolled: 4-line block ×3, first 2 shown]
	v_fmac_f32_e32 v11, 0xbf788fa5, v38
	v_mul_f32_e32 v101, 0xbf6f5d39, v49
	v_add_f32_e32 v10, v11, v10
	v_fma_f32 v11, v28, s14, -v101
	v_mul_f32_e32 v102, 0x3f29c268, v52
	v_add_f32_e32 v11, v11, v4
	v_fma_f32 v12, v30, s17, -v102
	;; [unrolled: 3-line block ×5, first 2 shown]
	v_mul_f32_e32 v106, 0x3f52af12, v72
	v_add_f32_e32 v12, v12, v11
	v_mov_b32_e32 v11, v106
	v_fmac_f32_e32 v11, 0x3f116cb1, v39
	v_mul_f32_e32 v107, 0x3f52af12, v67
	v_add_f32_e32 v11, v11, v10
	v_fma_f32 v10, v37, s13, -v107
	v_mul_f32_e32 v53, 0xbf7e222b, v53
	v_add_f32_e32 v10, v10, v12
	v_mov_b32_e32 v12, v53
	v_mul_f32_e32 v56, 0xbe750f2a, v56
	v_fmac_f32_e32 v12, 0x3df6dbef, v29
	v_mov_b32_e32 v13, v56
	v_add_f32_e32 v12, v12, v5
	v_fmac_f32_e32 v13, 0xbf788fa5, v31
	v_mul_f32_e32 v57, 0x3f6f5d39, v57
	v_add_f32_e32 v12, v13, v12
	v_mov_b32_e32 v13, v57
	v_fmac_f32_e32 v13, 0xbeb58ec6, v33
	v_mul_f32_e32 v59, 0x3eedf032, v59
	v_add_f32_e32 v12, v13, v12
	v_mov_b32_e32 v13, v59
	;; [unrolled: 4-line block ×3, first 2 shown]
	v_fmac_f32_e32 v13, 0x3f116cb1, v38
	v_mul_f32_e32 v49, 0xbf7e222b, v49
	v_add_f32_e32 v12, v13, v12
	v_fma_f32 v13, v28, s15, -v49
	v_mul_f32_e32 v52, 0xbe750f2a, v52
	v_add_f32_e32 v13, v13, v4
	v_fma_f32 v14, v30, s16, -v52
	;; [unrolled: 3-line block ×4, first 2 shown]
	v_mul_f32_e32 v60, 0xbf52af12, v60
	v_mul_f32_e32 v19, 0x3f7e222b, v72
	v_add_f32_e32 v13, v14, v13
	v_fma_f32 v14, v35, s13, -v60
	v_mul_f32_e32 v72, 0xbf29c268, v72
	v_add_f32_e32 v14, v14, v13
	v_mov_b32_e32 v13, v72
	v_mov_b32_e32 v7, v19
	v_fmac_f32_e32 v13, 0xbf3f9e67, v39
	v_mul_f32_e32 v67, 0xbf29c268, v67
	v_fmac_f32_e32 v7, 0x3df6dbef, v39
	v_add_f32_e32 v13, v13, v12
	v_fma_f32 v12, v37, s17, -v67
	v_add_f32_e32 v7, v7, v16
	v_add_f32_e32 v12, v12, v14
	v_mul_f32_e32 v14, 0x3f116cb1, v29
	v_mul_f32_e32 v16, 0x3f116cb1, v28
	v_add_f32_e32 v14, v76, v14
	v_mul_f32_e32 v15, 0xbeb58ec6, v31
	v_sub_f32_e32 v16, v16, v61
	v_mul_f32_e32 v17, 0xbeb58ec6, v30
	v_add_f32_e32 v15, v77, v15
	v_add_f32_e32 v14, v14, v5
	v_sub_f32_e32 v17, v17, v62
	v_add_f32_e32 v16, v16, v4
	v_add_f32_e32 v14, v15, v14
	v_mul_f32_e32 v15, 0xbf788fa5, v33
	v_add_f32_e32 v16, v17, v16
	v_mul_f32_e32 v17, 0xbf788fa5, v32
	v_add_f32_e32 v15, v78, v15
	v_sub_f32_e32 v17, v17, v63
	v_add_f32_e32 v14, v15, v14
	v_mul_f32_e32 v15, 0xbf3f9e67, v36
	v_add_f32_e32 v16, v17, v16
	v_mul_f32_e32 v17, 0xbf3f9e67, v34
	v_add_f32_e32 v15, v79, v15
	v_sub_f32_e32 v17, v17, v68
	v_add_f32_e32 v14, v15, v14
	v_mul_f32_e32 v15, 0x3df6dbef, v38
	v_add_f32_e32 v16, v17, v16
	v_mul_f32_e32 v17, 0x3df6dbef, v35
	v_fma_f32 v24, v29, s16, -v24
	v_add_f32_e32 v15, v80, v15
	v_sub_f32_e32 v17, v17, v70
	v_add_f32_e32 v24, v24, v5
	v_fma_f32 v21, v31, s12, -v21
	v_add_f32_e32 v14, v15, v14
	v_mul_f32_e32 v15, 0x3f62ad3f, v39
	v_add_f32_e32 v16, v17, v16
	v_mul_f32_e32 v17, 0x3f62ad3f, v37
	v_add_f32_e32 v21, v21, v24
	v_fma_f32 v22, v33, s17, -v22
	v_add_f32_e32 v15, v81, v15
	v_sub_f32_e32 v17, v17, v71
	v_add_f32_e32 v21, v22, v21
	v_fma_f32 v22, v36, s13, -v23
	v_fmac_f32_e32 v20, 0xbf788fa5, v28
	v_add_f32_e32 v15, v15, v14
	v_add_f32_e32 v14, v17, v16
	v_mul_f32_e32 v16, 0x3f62ad3f, v29
	v_add_f32_e32 v21, v22, v21
	v_fma_f32 v18, v38, s14, -v18
	v_add_f32_e32 v20, v20, v4
	v_fmac_f32_e32 v25, 0x3f62ad3f, v30
	v_add_f32_e32 v16, v42, v16
	v_mul_f32_e32 v42, 0x3f62ad3f, v28
	v_add_f32_e32 v18, v18, v21
	v_add_f32_e32 v20, v25, v20
	v_fma_f32 v19, v39, s15, -v19
	v_fmac_f32_e32 v26, 0xbf3f9e67, v32
	v_mul_f32_e32 v17, 0x3f116cb1, v31
	v_sub_f32_e32 v40, v42, v40
	v_mul_f32_e32 v42, 0x3f116cb1, v30
	v_add_f32_e32 v19, v19, v18
	v_add_f32_e32 v18, v26, v20
	v_fma_f32 v20, v29, s17, -v84
	v_fma_f32 v22, v29, s14, -v96
	v_add_f32_e32 v17, v44, v17
	v_add_f32_e32 v16, v16, v5
	v_sub_f32_e32 v41, v42, v41
	v_add_f32_e32 v40, v40, v4
	v_add_f32_e32 v20, v20, v5
	v_fma_f32 v21, v31, s15, -v85
	v_add_f32_e32 v22, v22, v5
	v_fma_f32 v23, v31, s17, -v97
	v_add_f32_e32 v16, v17, v16
	v_mul_f32_e32 v17, 0x3df6dbef, v33
	v_add_f32_e32 v40, v41, v40
	v_mul_f32_e32 v41, 0x3df6dbef, v32
	v_add_f32_e32 v20, v21, v20
	v_fma_f32 v21, v33, s13, -v86
	v_add_f32_e32 v22, v23, v22
	v_fma_f32 v23, v33, s12, -v98
	v_add_f32_e32 v17, v46, v17
	v_sub_f32_e32 v41, v41, v43
	v_add_f32_e32 v20, v21, v20
	v_fma_f32 v21, v36, s16, -v87
	v_add_f32_e32 v22, v23, v22
	v_fma_f32 v23, v36, s15, -v99
	v_add_f32_e32 v16, v17, v16
	v_mul_f32_e32 v17, 0xbeb58ec6, v36
	v_add_f32_e32 v40, v41, v40
	v_mul_f32_e32 v41, 0xbeb58ec6, v34
	v_add_f32_e32 v20, v21, v20
	v_fma_f32 v21, v38, s12, -v88
	v_add_f32_e32 v22, v23, v22
	v_fma_f32 v23, v38, s16, -v100
	v_fma_f32 v24, v29, s15, -v53
	v_add_f32_e32 v17, v48, v17
	v_sub_f32_e32 v41, v41, v45
	v_add_f32_e32 v20, v21, v20
	v_fma_f32 v21, v39, s14, -v94
	v_fmac_f32_e32 v89, 0xbf3f9e67, v28
	v_add_f32_e32 v22, v23, v22
	v_fma_f32 v23, v39, s13, -v106
	v_fmac_f32_e32 v101, 0xbeb58ec6, v28
	;; [unrolled: 3-line block ×3, first 2 shown]
	v_add_f32_e32 v16, v17, v16
	v_mul_f32_e32 v17, 0xbf3f9e67, v38
	v_add_f32_e32 v40, v41, v40
	v_mul_f32_e32 v41, 0xbf3f9e67, v35
	v_add_f32_e32 v21, v21, v20
	v_add_f32_e32 v20, v89, v4
	v_fmac_f32_e32 v90, 0x3df6dbef, v30
	v_add_f32_e32 v23, v23, v22
	v_add_f32_e32 v22, v101, v4
	v_fmac_f32_e32 v102, 0xbf3f9e67, v30
	v_add_f32_e32 v5, v24, v5
	v_fma_f32 v24, v33, s14, -v57
	v_add_f32_e32 v4, v49, v4
	v_fmac_f32_e32 v52, 0xbf788fa5, v30
	v_add_f32_e32 v17, v51, v17
	v_sub_f32_e32 v41, v41, v47
	v_add_f32_e32 v20, v90, v20
	v_fmac_f32_e32 v91, 0x3f116cb1, v32
	v_add_f32_e32 v22, v102, v22
	v_fmac_f32_e32 v103, 0x3f62ad3f, v32
	v_add_f32_e32 v5, v24, v5
	v_fma_f32 v24, v36, s12, -v59
	v_add_f32_e32 v4, v52, v4
	v_fmac_f32_e32 v55, 0xbeb58ec6, v32
	v_add_f32_e32 v16, v17, v16
	v_mul_f32_e32 v17, 0xbf788fa5, v39
	v_add_f32_e32 v40, v41, v40
	v_mul_f32_e32 v41, 0xbf788fa5, v37
	v_fmac_f32_e32 v27, 0x3f116cb1, v34
	v_add_f32_e32 v20, v91, v20
	v_fmac_f32_e32 v92, 0xbf788fa5, v34
	v_add_f32_e32 v22, v103, v22
	;; [unrolled: 2-line block ×3, first 2 shown]
	v_fma_f32 v24, v38, s13, -v69
	v_add_f32_e32 v4, v55, v4
	v_fmac_f32_e32 v58, 0x3f62ad3f, v34
	v_add_f32_e32 v17, v54, v17
	v_sub_f32_e32 v41, v41, v50
	v_add_f32_e32 v18, v27, v18
	v_fmac_f32_e32 v82, 0xbeb58ec6, v35
	v_add_f32_e32 v20, v92, v20
	v_fmac_f32_e32 v93, 0x3f62ad3f, v35
	;; [unrolled: 2-line block ×3, first 2 shown]
	v_add_f32_e32 v5, v24, v5
	v_fma_f32 v24, v39, s17, -v72
	v_add_f32_e32 v4, v58, v4
	v_fmac_f32_e32 v60, 0x3f116cb1, v35
	v_add_f32_e32 v17, v17, v16
	v_add_f32_e32 v16, v41, v40
	;; [unrolled: 1-line block ×3, first 2 shown]
	v_fmac_f32_e32 v83, 0x3df6dbef, v37
	v_add_f32_e32 v20, v93, v20
	v_fmac_f32_e32 v95, 0xbeb58ec6, v37
	v_add_f32_e32 v22, v105, v22
	;; [unrolled: 2-line block ×3, first 2 shown]
	v_add_f32_e32 v4, v60, v4
	v_fmac_f32_e32 v67, 0xbf3f9e67, v37
	v_lshlrev_b32_e32 v24, 3, v75
	v_add_f32_e32 v18, v83, v18
	v_add_f32_e32 v20, v95, v20
	;; [unrolled: 1-line block ×4, first 2 shown]
	ds_write2_b64 v24, v[0:1], v[16:17] offset1:1
	ds_write2_b64 v24, v[14:15], v[12:13] offset0:2 offset1:3
	ds_write2_b64 v24, v[10:11], v[8:9] offset0:4 offset1:5
	;; [unrolled: 1-line block ×5, first 2 shown]
	ds_write_b64 v24, v[65:66] offset:96
.LBB0_7:
	s_or_b64 exec, exec, s[4:5]
	s_movk_i32 s12, 0x4f
	v_mul_lo_u16_sdwa v0, v74, s12 dst_sel:DWORD dst_unused:UNUSED_PAD src0_sel:BYTE_0 src1_sel:DWORD
	v_lshrrev_b16_e32 v44, 10, v0
	v_mul_lo_u16_e32 v0, 13, v44
	v_sub_u16_e32 v0, v74, v0
	v_and_b32_e32 v45, 0xff, v0
	v_mul_u32_u24_e32 v0, 10, v45
	v_lshlrev_b32_e32 v0, 3, v0
	s_load_dwordx4 s[4:7], s[6:7], 0x0
	s_waitcnt lgkmcnt(0)
	s_barrier
	global_load_dwordx4 v[16:19], v0, s[2:3]
	global_load_dwordx4 v[12:15], v0, s[2:3] offset:16
	global_load_dwordx4 v[8:11], v0, s[2:3] offset:32
	;; [unrolled: 1-line block ×4, first 2 shown]
	ds_read2_b64 v[24:27], v73 offset1:143
	ds_read_b64 v[0:1], v73 offset:11440
	v_add_u32_e32 v70, 0x800, v73
	v_add_u32_e32 v69, 0x1000, v73
	;; [unrolled: 1-line block ×4, first 2 shown]
	ds_read2_b64 v[28:31], v70 offset0:30 offset1:173
	ds_read2_b64 v[32:35], v69 offset0:60 offset1:203
	;; [unrolled: 1-line block ×4, first 2 shown]
	s_mov_b32 s12, 0x3f575c64
	s_mov_b32 s13, 0x3ed4b147
	;; [unrolled: 1-line block ×5, first 2 shown]
	v_mul_u32_u24_e32 v44, 0x8f, v44
	v_add_lshl_u32 v76, v44, v45, 3
	s_waitcnt vmcnt(0) lgkmcnt(0)
	s_barrier
	s_movk_i32 s17, 0x50
	v_mul_f32_e32 v46, v27, v17
	v_mul_f32_e32 v47, v26, v17
	;; [unrolled: 1-line block ×6, first 2 shown]
	v_fma_f32 v26, v26, v16, -v46
	v_fmac_f32_e32 v47, v27, v16
	v_mul_f32_e32 v50, v31, v13
	v_mul_f32_e32 v51, v30, v13
	;; [unrolled: 1-line block ×4, first 2 shown]
	v_fma_f32 v27, v28, v18, -v48
	v_fmac_f32_e32 v49, v29, v18
	v_fmac_f32_e32 v55, v35, v8
	;; [unrolled: 1-line block ×3, first 2 shown]
	v_add_f32_e32 v1, v24, v26
	v_add_f32_e32 v35, v25, v47
	v_mul_f32_e32 v52, v33, v15
	v_mul_f32_e32 v53, v32, v15
	v_fma_f32 v28, v30, v12, -v50
	v_fmac_f32_e32 v51, v31, v12
	v_add_f32_e32 v1, v1, v27
	v_add_f32_e32 v35, v35, v49
	v_fma_f32 v29, v32, v14, -v52
	v_fmac_f32_e32 v53, v33, v14
	v_add_f32_e32 v1, v1, v28
	v_add_f32_e32 v35, v35, v51
	v_mul_f32_e32 v56, v37, v11
	v_mul_f32_e32 v57, v36, v11
	v_fma_f32 v30, v34, v8, -v54
	v_add_f32_e32 v1, v1, v29
	v_add_f32_e32 v35, v35, v53
	v_mul_f32_e32 v58, v39, v5
	v_mul_f32_e32 v59, v38, v5
	v_fma_f32 v31, v36, v10, -v56
	v_fmac_f32_e32 v57, v37, v10
	v_add_f32_e32 v1, v1, v30
	v_add_f32_e32 v35, v35, v55
	v_mul_f32_e32 v60, v41, v7
	v_mul_f32_e32 v61, v40, v7
	v_fma_f32 v32, v38, v4, -v58
	v_fmac_f32_e32 v59, v39, v4
	;; [unrolled: 6-line block ×3, first 2 shown]
	v_fma_f32 v0, v0, v22, -v71
	v_add_f32_e32 v1, v1, v32
	v_add_f32_e32 v35, v35, v59
	v_fma_f32 v34, v42, v20, -v62
	v_fmac_f32_e32 v63, v43, v20
	v_add_f32_e32 v36, v26, v0
	v_sub_f32_e32 v26, v26, v0
	v_sub_f32_e32 v38, v47, v72
	v_add_f32_e32 v1, v1, v33
	v_add_f32_e32 v35, v35, v61
	v_mul_f32_e32 v39, 0xbf0a6770, v38
	v_mul_f32_e32 v40, 0xbf0a6770, v26
	v_add_f32_e32 v1, v1, v34
	v_add_f32_e32 v35, v35, v63
	v_mul_f32_e32 v46, 0xbf68dda4, v26
	v_mul_f32_e32 v52, 0xbf7d64f0, v26
	;; [unrolled: 1-line block ×4, first 2 shown]
	v_add_f32_e32 v37, v47, v72
	v_fma_f32 v41, v36, s12, -v39
	v_mov_b32_e32 v42, v40
	v_fmac_f32_e32 v39, 0x3f575c64, v36
	v_add_f32_e32 v0, v1, v0
	v_add_f32_e32 v1, v35, v72
	v_mov_b32_e32 v47, v46
	v_mov_b32_e32 v54, v52
	v_mov_b32_e32 v62, v60
	v_mov_b32_e32 v72, v26
	v_fmac_f32_e32 v42, 0x3f575c64, v37
	v_add_f32_e32 v35, v24, v39
	v_fma_f32 v39, v37, s12, -v40
	v_fmac_f32_e32 v47, 0x3ed4b147, v37
	v_fma_f32 v46, v37, s13, -v46
	v_fmac_f32_e32 v54, 0xbe11bafb, v37
	;; [unrolled: 2-line block ×4, first 2 shown]
	v_fma_f32 v26, v37, s16, -v26
	v_add_f32_e32 v42, v25, v42
	v_add_f32_e32 v39, v25, v39
	v_mul_f32_e32 v40, 0xbf68dda4, v38
	v_add_f32_e32 v47, v25, v47
	v_add_f32_e32 v46, v25, v46
	v_mul_f32_e32 v48, 0xbf7d64f0, v38
	;; [unrolled: 3-line block ×4, first 2 shown]
	v_add_f32_e32 v72, v25, v72
	v_add_f32_e32 v25, v25, v26
	;; [unrolled: 1-line block ×3, first 2 shown]
	v_sub_f32_e32 v27, v27, v34
	v_sub_f32_e32 v34, v49, v63
	v_fma_f32 v43, v36, s13, -v40
	v_fmac_f32_e32 v40, 0x3ed4b147, v36
	v_fma_f32 v50, v36, s14, -v48
	v_fmac_f32_e32 v48, 0xbe11bafb, v36
	;; [unrolled: 2-line block ×4, first 2 shown]
	v_mul_f32_e32 v37, 0xbf68dda4, v34
	v_add_f32_e32 v41, v24, v41
	v_add_f32_e32 v43, v24, v43
	;; [unrolled: 1-line block ×9, first 2 shown]
	v_fma_f32 v38, v26, s13, -v37
	v_add_f32_e32 v36, v49, v63
	v_add_f32_e32 v38, v38, v41
	v_mul_f32_e32 v41, 0xbf68dda4, v27
	v_fmac_f32_e32 v37, 0x3ed4b147, v26
	v_add_f32_e32 v35, v37, v35
	v_fma_f32 v37, v36, s13, -v41
	v_add_f32_e32 v37, v37, v39
	v_mul_f32_e32 v39, 0xbf4178ce, v34
	v_mov_b32_e32 v49, v41
	v_fma_f32 v41, v26, s15, -v39
	v_fmac_f32_e32 v49, 0x3ed4b147, v36
	v_add_f32_e32 v41, v41, v43
	v_mul_f32_e32 v43, 0xbf4178ce, v27
	v_add_f32_e32 v42, v49, v42
	v_mov_b32_e32 v49, v43
	v_fmac_f32_e32 v39, 0xbf27a4f4, v26
	v_fmac_f32_e32 v49, 0xbf27a4f4, v36
	v_add_f32_e32 v39, v39, v40
	v_fma_f32 v40, v36, s15, -v43
	v_mul_f32_e32 v43, 0x3e903f40, v34
	v_add_f32_e32 v47, v49, v47
	v_add_f32_e32 v40, v40, v46
	v_fma_f32 v46, v26, s16, -v43
	v_mul_f32_e32 v49, 0x3e903f40, v27
	v_add_f32_e32 v46, v46, v50
	v_mov_b32_e32 v50, v49
	v_fmac_f32_e32 v43, 0xbf75a155, v26
	v_fmac_f32_e32 v50, 0xbf75a155, v36
	v_add_f32_e32 v43, v43, v48
	v_fma_f32 v48, v36, s16, -v49
	v_mul_f32_e32 v49, 0x3f7d64f0, v34
	v_add_f32_e32 v50, v50, v54
	v_add_f32_e32 v48, v48, v52
	v_fma_f32 v52, v26, s14, -v49
	v_mul_f32_e32 v54, 0x3f7d64f0, v27
	v_fmac_f32_e32 v49, 0xbe11bafb, v26
	v_mul_f32_e32 v34, 0x3f0a6770, v34
	v_mul_f32_e32 v27, 0x3f0a6770, v27
	v_add_f32_e32 v49, v49, v56
	v_fma_f32 v56, v26, s12, -v34
	v_fmac_f32_e32 v34, 0x3f575c64, v26
	v_fma_f32 v26, v36, s12, -v27
	v_add_f32_e32 v52, v52, v58
	v_mov_b32_e32 v58, v54
	v_fma_f32 v54, v36, s14, -v54
	v_add_f32_e32 v25, v26, v25
	v_add_f32_e32 v26, v28, v33
	v_sub_f32_e32 v28, v28, v33
	v_sub_f32_e32 v33, v51, v61
	v_add_f32_e32 v54, v54, v60
	v_mov_b32_e32 v60, v27
	v_add_f32_e32 v24, v34, v24
	v_mul_f32_e32 v34, 0xbf7d64f0, v33
	v_fmac_f32_e32 v58, 0xbe11bafb, v36
	v_fmac_f32_e32 v60, 0x3f575c64, v36
	v_fma_f32 v36, v26, s14, -v34
	v_add_f32_e32 v27, v51, v61
	v_add_f32_e32 v36, v36, v38
	v_mul_f32_e32 v38, 0xbf7d64f0, v28
	v_fmac_f32_e32 v34, 0xbe11bafb, v26
	v_add_f32_e32 v34, v34, v35
	v_fma_f32 v35, v27, s14, -v38
	v_add_f32_e32 v35, v35, v37
	v_mul_f32_e32 v37, 0x3e903f40, v33
	v_mov_b32_e32 v51, v38
	v_fma_f32 v38, v26, s16, -v37
	v_add_f32_e32 v38, v38, v41
	v_mul_f32_e32 v41, 0x3e903f40, v28
	v_fmac_f32_e32 v37, 0xbf75a155, v26
	v_add_f32_e32 v37, v37, v39
	v_fma_f32 v39, v27, s16, -v41
	v_fmac_f32_e32 v51, 0xbe11bafb, v27
	v_add_f32_e32 v39, v39, v40
	v_mul_f32_e32 v40, 0x3f68dda4, v33
	v_add_f32_e32 v42, v51, v42
	v_mov_b32_e32 v51, v41
	v_fma_f32 v41, v26, s13, -v40
	v_fmac_f32_e32 v51, 0xbf75a155, v27
	v_add_f32_e32 v41, v41, v46
	v_mul_f32_e32 v46, 0x3f68dda4, v28
	v_add_f32_e32 v47, v51, v47
	v_mov_b32_e32 v51, v46
	v_fmac_f32_e32 v40, 0x3ed4b147, v26
	v_fmac_f32_e32 v51, 0x3ed4b147, v27
	v_add_f32_e32 v40, v40, v43
	v_fma_f32 v43, v27, s13, -v46
	v_mul_f32_e32 v46, 0xbf0a6770, v33
	v_add_f32_e32 v50, v51, v50
	v_add_f32_e32 v43, v43, v48
	v_fma_f32 v48, v26, s12, -v46
	v_mul_f32_e32 v51, 0xbf0a6770, v28
	v_fmac_f32_e32 v46, 0x3f575c64, v26
	v_mul_f32_e32 v33, 0xbf4178ce, v33
	v_mul_f32_e32 v28, 0xbf4178ce, v28
	v_add_f32_e32 v48, v48, v52
	v_mov_b32_e32 v52, v51
	v_add_f32_e32 v46, v46, v49
	v_fma_f32 v49, v27, s12, -v51
	v_fma_f32 v51, v26, s15, -v33
	v_fmac_f32_e32 v33, 0xbf27a4f4, v26
	v_fma_f32 v26, v27, s15, -v28
	v_add_f32_e32 v49, v49, v54
	v_mov_b32_e32 v54, v28
	v_add_f32_e32 v25, v26, v25
	v_add_f32_e32 v26, v29, v32
	v_sub_f32_e32 v28, v29, v32
	v_sub_f32_e32 v29, v53, v59
	v_mul_f32_e32 v32, 0xbf4178ce, v29
	v_add_f32_e32 v24, v33, v24
	v_fma_f32 v33, v26, s15, -v32
	v_fmac_f32_e32 v52, 0x3f575c64, v27
	v_fmac_f32_e32 v54, 0xbf27a4f4, v27
	v_add_f32_e32 v27, v53, v59
	v_add_f32_e32 v33, v33, v36
	v_mul_f32_e32 v36, 0xbf4178ce, v28
	v_fmac_f32_e32 v32, 0xbf27a4f4, v26
	v_add_f32_e32 v32, v32, v34
	v_fma_f32 v34, v27, s15, -v36
	v_add_f32_e32 v34, v34, v35
	v_mul_f32_e32 v35, 0x3f7d64f0, v29
	v_mov_b32_e32 v53, v36
	v_fma_f32 v36, v26, s14, -v35
	v_fmac_f32_e32 v53, 0xbf27a4f4, v27
	v_add_f32_e32 v36, v36, v38
	v_mul_f32_e32 v38, 0x3f7d64f0, v28
	v_fmac_f32_e32 v35, 0xbe11bafb, v26
	v_add_f32_e32 v42, v53, v42
	v_mov_b32_e32 v53, v38
	v_add_f32_e32 v35, v35, v37
	v_fma_f32 v37, v27, s14, -v38
	v_mul_f32_e32 v38, 0xbf0a6770, v29
	v_add_f32_e32 v37, v37, v39
	v_fma_f32 v39, v26, s12, -v38
	v_fmac_f32_e32 v53, 0xbe11bafb, v27
	v_add_f32_e32 v39, v39, v41
	v_mul_f32_e32 v41, 0xbf0a6770, v28
	v_fmac_f32_e32 v38, 0x3f575c64, v26
	v_add_f32_e32 v47, v53, v47
	v_mov_b32_e32 v53, v41
	v_add_f32_e32 v38, v38, v40
	v_fma_f32 v40, v27, s12, -v41
	v_mul_f32_e32 v41, 0xbe903f40, v29
	v_add_f32_e32 v40, v40, v43
	v_fma_f32 v43, v26, s16, -v41
	v_add_f32_e32 v43, v43, v48
	v_mul_f32_e32 v48, 0xbe903f40, v28
	v_fmac_f32_e32 v41, 0xbf75a155, v26
	v_add_f32_e32 v58, v58, v62
	v_add_f32_e32 v56, v56, v71
	v_fmac_f32_e32 v53, 0x3f575c64, v27
	v_add_f32_e32 v41, v41, v46
	v_fma_f32 v46, v27, s16, -v48
	v_mul_f32_e32 v29, 0x3f68dda4, v29
	v_mul_f32_e32 v28, 0x3f68dda4, v28
	v_add_f32_e32 v60, v60, v72
	v_add_f32_e32 v52, v52, v58
	v_add_f32_e32 v51, v51, v56
	v_add_f32_e32 v50, v53, v50
	v_mov_b32_e32 v53, v48
	v_add_f32_e32 v46, v46, v49
	v_fma_f32 v48, v26, s13, -v29
	v_mov_b32_e32 v49, v28
	v_fmac_f32_e32 v29, 0x3ed4b147, v26
	v_sub_f32_e32 v58, v30, v31
	v_add_f32_e32 v54, v54, v60
	v_fmac_f32_e32 v53, 0xbf75a155, v27
	v_add_f32_e32 v48, v48, v51
	v_fmac_f32_e32 v49, 0x3ed4b147, v27
	v_add_f32_e32 v51, v29, v24
	v_fma_f32 v24, v27, s13, -v28
	v_add_f32_e32 v56, v55, v57
	v_sub_f32_e32 v55, v55, v57
	v_mul_f32_e32 v27, 0xbe903f40, v58
	v_add_f32_e32 v52, v53, v52
	v_add_f32_e32 v49, v49, v54
	;; [unrolled: 1-line block ×4, first 2 shown]
	v_mul_f32_e32 v26, 0xbe903f40, v55
	v_mov_b32_e32 v25, v27
	v_fma_f32 v27, v56, s16, -v27
	v_fma_f32 v24, v54, s16, -v26
	v_fmac_f32_e32 v26, 0xbf75a155, v54
	v_add_f32_e32 v27, v27, v34
	v_mul_f32_e32 v34, 0xbf4178ce, v55
	v_add_f32_e32 v26, v26, v32
	v_mul_f32_e32 v30, 0x3f0a6770, v55
	v_fma_f32 v32, v54, s15, -v34
	v_fmac_f32_e32 v34, 0xbf27a4f4, v54
	v_fma_f32 v28, v54, s12, -v30
	v_add_f32_e32 v34, v34, v38
	v_mul_f32_e32 v38, 0x3f68dda4, v55
	v_add_f32_e32 v28, v28, v36
	v_mul_f32_e32 v31, 0x3f0a6770, v58
	v_fmac_f32_e32 v30, 0x3f575c64, v54
	v_fma_f32 v36, v54, s13, -v38
	v_fmac_f32_e32 v25, 0xbf75a155, v56
	v_mov_b32_e32 v29, v31
	v_add_f32_e32 v30, v30, v35
	v_fma_f32 v31, v56, s12, -v31
	v_add_f32_e32 v32, v32, v39
	v_mul_f32_e32 v35, 0xbf4178ce, v58
	v_add_f32_e32 v36, v36, v43
	v_mul_f32_e32 v39, 0x3f68dda4, v58
	v_fmac_f32_e32 v38, 0x3ed4b147, v54
	v_mul_f32_e32 v43, 0xbf7d64f0, v58
	v_add_f32_e32 v24, v24, v33
	v_add_f32_e32 v25, v25, v42
	;; [unrolled: 1-line block ×3, first 2 shown]
	v_mov_b32_e32 v33, v35
	v_fma_f32 v35, v56, s15, -v35
	v_mov_b32_e32 v37, v39
	v_add_f32_e32 v38, v38, v41
	v_mul_f32_e32 v42, 0xbf7d64f0, v55
	v_mov_b32_e32 v41, v43
	v_fmac_f32_e32 v29, 0x3f575c64, v56
	v_fmac_f32_e32 v33, 0xbf27a4f4, v56
	v_add_f32_e32 v35, v35, v40
	v_fmac_f32_e32 v37, 0x3ed4b147, v56
	v_fma_f32 v39, v56, s13, -v39
	v_fma_f32 v40, v54, s14, -v42
	v_fmac_f32_e32 v41, 0xbe11bafb, v56
	v_fmac_f32_e32 v42, 0xbe11bafb, v54
	v_fma_f32 v43, v56, s14, -v43
	v_add_f32_e32 v29, v29, v47
	v_add_f32_e32 v33, v33, v50
	;; [unrolled: 1-line block ×8, first 2 shown]
	ds_write2_b64 v76, v[0:1], v[24:25] offset1:13
	ds_write2_b64 v76, v[28:29], v[32:33] offset0:26 offset1:39
	ds_write2_b64 v76, v[36:37], v[40:41] offset0:52 offset1:65
	ds_write2_b64 v76, v[42:43], v[38:39] offset0:78 offset1:91
	ds_write2_b64 v76, v[34:35], v[30:31] offset0:104 offset1:117
	ds_write_b64 v76, v[26:27] offset:1040
	v_mov_b32_e32 v0, s2
	v_mov_b32_e32 v1, s3
	v_mad_u64_u32 v[0:1], s[2:3], v74, s17, v[0:1]
	s_waitcnt lgkmcnt(0)
	s_barrier
	global_load_dwordx4 v[36:39], v[0:1], off offset:1040
	global_load_dwordx4 v[32:35], v[0:1], off offset:1056
	;; [unrolled: 1-line block ×5, first 2 shown]
	ds_read2_b64 v[46:49], v73 offset1:143
	ds_read2_b64 v[50:53], v70 offset0:30 offset1:173
	ds_read2_b64 v[54:57], v69 offset0:60 offset1:203
	;; [unrolled: 1-line block ×4, first 2 shown]
	ds_read_b64 v[0:1], v73 offset:11440
	s_waitcnt vmcnt(4) lgkmcnt(5)
	v_mul_f32_e32 v44, v49, v37
	v_fma_f32 v62, v48, v36, -v44
	v_mul_f32_e32 v48, v48, v37
	s_waitcnt lgkmcnt(4)
	v_mul_f32_e32 v44, v51, v39
	v_fmac_f32_e32 v48, v49, v36
	v_fma_f32 v49, v50, v38, -v44
	v_mul_f32_e32 v50, v50, v39
	s_waitcnt vmcnt(3)
	v_mul_f32_e32 v44, v53, v33
	v_fmac_f32_e32 v50, v51, v38
	v_fma_f32 v51, v52, v32, -v44
	v_mul_f32_e32 v52, v52, v33
	s_waitcnt lgkmcnt(3)
	v_mul_f32_e32 v44, v55, v35
	v_fmac_f32_e32 v52, v53, v32
	v_fma_f32 v53, v54, v34, -v44
	v_mul_f32_e32 v54, v54, v35
	s_waitcnt vmcnt(2)
	v_mul_f32_e32 v44, v57, v29
	v_fmac_f32_e32 v54, v55, v34
	;; [unrolled: 10-line block ×3, first 2 shown]
	v_fma_f32 v59, v60, v24, -v44
	v_mul_f32_e32 v60, v60, v25
	s_waitcnt lgkmcnt(1)
	v_mul_f32_e32 v44, v78, v27
	v_fmac_f32_e32 v60, v61, v24
	v_fma_f32 v61, v77, v26, -v44
	s_waitcnt vmcnt(0)
	v_mul_f32_e32 v44, v80, v41
	v_fma_f32 v71, v79, v40, -v44
	s_waitcnt lgkmcnt(0)
	v_mul_f32_e32 v44, v1, v43
	v_mul_f32_e32 v63, v77, v27
	v_fma_f32 v77, v0, v42, -v44
	v_mul_f32_e32 v0, v0, v43
	v_fmac_f32_e32 v0, v1, v42
	v_add_f32_e32 v1, v46, v62
	v_add_f32_e32 v44, v47, v48
	;; [unrolled: 1-line block ×13, first 2 shown]
	v_fmac_f32_e32 v63, v78, v26
	v_mul_f32_e32 v72, v79, v41
	v_add_f32_e32 v44, v44, v60
	v_add_f32_e32 v1, v1, v61
	v_fmac_f32_e32 v72, v80, v40
	v_add_f32_e32 v44, v44, v63
	v_add_f32_e32 v1, v1, v71
	;; [unrolled: 1-line block ×5, first 2 shown]
	v_sub_f32_e32 v62, v62, v77
	v_add_f32_e32 v45, v45, v0
	v_add_f32_e32 v78, v48, v0
	v_sub_f32_e32 v0, v48, v0
	v_mul_f32_e32 v79, 0xbf0a6770, v62
	v_mul_f32_e32 v83, 0xbf68dda4, v62
	;; [unrolled: 1-line block ×6, first 2 shown]
	v_mov_b32_e32 v80, v79
	v_mul_f32_e32 v81, 0xbf68dda4, v0
	v_mov_b32_e32 v84, v83
	v_mul_f32_e32 v85, 0xbf7d64f0, v0
	;; [unrolled: 2-line block ×4, first 2 shown]
	v_mov_b32_e32 v94, v62
	v_fma_f32 v77, v1, s12, -v48
	v_fmac_f32_e32 v80, 0x3f575c64, v78
	v_fmac_f32_e32 v48, 0x3f575c64, v1
	v_fma_f32 v79, v78, s12, -v79
	v_fma_f32 v82, v1, s13, -v81
	v_fmac_f32_e32 v84, 0x3ed4b147, v78
	v_fmac_f32_e32 v81, 0x3ed4b147, v1
	v_fma_f32 v83, v78, s13, -v83
	;; [unrolled: 4-line block ×5, first 2 shown]
	v_add_f32_e32 v80, v47, v80
	v_add_f32_e32 v79, v47, v79
	;; [unrolled: 1-line block ×11, first 2 shown]
	v_sub_f32_e32 v50, v50, v72
	v_add_f32_e32 v77, v46, v77
	v_add_f32_e32 v48, v46, v48
	;; [unrolled: 1-line block ×11, first 2 shown]
	v_sub_f32_e32 v49, v49, v71
	v_mul_f32_e32 v62, 0xbf68dda4, v50
	v_fma_f32 v71, v46, s13, -v62
	v_mul_f32_e32 v72, 0xbf68dda4, v49
	v_fmac_f32_e32 v62, 0x3ed4b147, v46
	v_add_f32_e32 v71, v71, v77
	v_mov_b32_e32 v77, v72
	v_add_f32_e32 v48, v62, v48
	v_fma_f32 v62, v47, s13, -v72
	v_mul_f32_e32 v72, 0xbf4178ce, v50
	v_fma_f32 v78, v46, s15, -v72
	v_fmac_f32_e32 v72, 0xbf27a4f4, v46
	v_fmac_f32_e32 v77, 0x3ed4b147, v47
	v_add_f32_e32 v62, v62, v79
	v_mul_f32_e32 v79, 0xbf4178ce, v49
	v_add_f32_e32 v72, v72, v81
	v_mul_f32_e32 v81, 0x3e903f40, v50
	v_add_f32_e32 v77, v77, v80
	v_add_f32_e32 v78, v78, v82
	v_mov_b32_e32 v80, v79
	v_fma_f32 v79, v47, s15, -v79
	v_fma_f32 v82, v46, s16, -v81
	v_fmac_f32_e32 v81, 0xbf75a155, v46
	v_fmac_f32_e32 v80, 0xbf27a4f4, v47
	v_add_f32_e32 v79, v79, v83
	v_mul_f32_e32 v83, 0x3e903f40, v49
	v_add_f32_e32 v81, v81, v85
	v_mul_f32_e32 v85, 0x3f7d64f0, v50
	v_add_f32_e32 v80, v80, v84
	v_add_f32_e32 v82, v82, v86
	v_mov_b32_e32 v84, v83
	v_fma_f32 v83, v47, s16, -v83
	v_fma_f32 v86, v46, s14, -v85
	v_fmac_f32_e32 v85, 0xbe11bafb, v46
	v_mul_f32_e32 v50, 0x3f0a6770, v50
	v_add_f32_e32 v83, v83, v87
	v_mul_f32_e32 v87, 0x3f7d64f0, v49
	v_add_f32_e32 v85, v85, v89
	v_fma_f32 v89, v46, s12, -v50
	v_mul_f32_e32 v49, 0x3f0a6770, v49
	v_fmac_f32_e32 v50, 0x3f575c64, v46
	v_fmac_f32_e32 v84, 0xbf75a155, v47
	v_add_f32_e32 v0, v50, v0
	v_fma_f32 v46, v47, s12, -v49
	v_sub_f32_e32 v50, v52, v63
	v_add_f32_e32 v84, v84, v88
	v_add_f32_e32 v86, v86, v90
	v_mov_b32_e32 v88, v87
	v_mov_b32_e32 v90, v49
	v_add_f32_e32 v1, v46, v1
	v_add_f32_e32 v46, v51, v61
	v_sub_f32_e32 v49, v51, v61
	v_mul_f32_e32 v51, 0xbf7d64f0, v50
	v_fmac_f32_e32 v88, 0xbe11bafb, v47
	v_fma_f32 v87, v47, s14, -v87
	v_fmac_f32_e32 v90, 0x3f575c64, v47
	v_add_f32_e32 v47, v52, v63
	v_fma_f32 v52, v46, s14, -v51
	v_mul_f32_e32 v61, 0xbf7d64f0, v49
	v_fmac_f32_e32 v51, 0xbe11bafb, v46
	v_mov_b32_e32 v63, v61
	v_add_f32_e32 v48, v51, v48
	v_fma_f32 v51, v47, s14, -v61
	v_mul_f32_e32 v61, 0x3e903f40, v50
	v_add_f32_e32 v51, v51, v62
	v_fma_f32 v62, v46, s16, -v61
	v_fmac_f32_e32 v61, 0xbf75a155, v46
	v_add_f32_e32 v52, v52, v71
	v_fmac_f32_e32 v63, 0xbe11bafb, v47
	v_mul_f32_e32 v71, 0x3e903f40, v49
	v_add_f32_e32 v61, v61, v72
	v_mul_f32_e32 v72, 0x3f68dda4, v50
	v_add_f32_e32 v63, v63, v77
	v_add_f32_e32 v62, v62, v78
	v_mov_b32_e32 v77, v71
	v_fma_f32 v71, v47, s16, -v71
	v_fma_f32 v78, v46, s13, -v72
	v_fmac_f32_e32 v72, 0x3ed4b147, v46
	v_fmac_f32_e32 v77, 0xbf75a155, v47
	v_add_f32_e32 v71, v71, v79
	v_mul_f32_e32 v79, 0x3f68dda4, v49
	v_add_f32_e32 v72, v72, v81
	v_mul_f32_e32 v81, 0xbf0a6770, v50
	v_add_f32_e32 v77, v77, v80
	v_add_f32_e32 v78, v78, v82
	v_mov_b32_e32 v80, v79
	v_fma_f32 v79, v47, s13, -v79
	v_fma_f32 v82, v46, s12, -v81
	v_fmac_f32_e32 v81, 0x3f575c64, v46
	v_mul_f32_e32 v50, 0xbf4178ce, v50
	v_add_f32_e32 v79, v79, v83
	v_mul_f32_e32 v83, 0xbf0a6770, v49
	v_add_f32_e32 v81, v81, v85
	v_fma_f32 v85, v46, s15, -v50
	v_mul_f32_e32 v49, 0xbf4178ce, v49
	v_fmac_f32_e32 v50, 0xbf27a4f4, v46
	v_fmac_f32_e32 v80, 0x3ed4b147, v47
	v_add_f32_e32 v0, v50, v0
	v_fma_f32 v46, v47, s15, -v49
	v_sub_f32_e32 v50, v54, v60
	v_add_f32_e32 v80, v80, v84
	v_add_f32_e32 v82, v82, v86
	v_mov_b32_e32 v84, v83
	v_mov_b32_e32 v86, v49
	v_add_f32_e32 v1, v46, v1
	v_add_f32_e32 v46, v53, v59
	v_sub_f32_e32 v49, v53, v59
	v_mul_f32_e32 v53, 0xbf4178ce, v50
	v_fmac_f32_e32 v84, 0x3f575c64, v47
	v_fma_f32 v83, v47, s12, -v83
	v_fmac_f32_e32 v86, 0xbf27a4f4, v47
	v_add_f32_e32 v47, v54, v60
	v_fma_f32 v54, v46, s15, -v53
	v_add_f32_e32 v52, v54, v52
	v_mul_f32_e32 v54, 0xbf4178ce, v49
	v_fmac_f32_e32 v53, 0xbf27a4f4, v46
	v_add_f32_e32 v48, v53, v48
	v_fma_f32 v53, v47, s15, -v54
	v_add_f32_e32 v51, v53, v51
	v_mul_f32_e32 v53, 0x3f7d64f0, v50
	v_mov_b32_e32 v59, v54
	v_fma_f32 v54, v46, s14, -v53
	v_mul_f32_e32 v60, 0x3f7d64f0, v49
	v_fmac_f32_e32 v59, 0xbf27a4f4, v47
	v_add_f32_e32 v54, v54, v62
	v_mov_b32_e32 v62, v60
	v_fma_f32 v60, v47, s14, -v60
	v_add_f32_e32 v59, v59, v63
	v_fmac_f32_e32 v53, 0xbe11bafb, v46
	v_add_f32_e32 v63, v60, v71
	v_mul_f32_e32 v60, 0xbf0a6770, v50
	v_add_f32_e32 v53, v53, v61
	v_fma_f32 v61, v46, s12, -v60
	v_add_f32_e32 v71, v61, v78
	v_mul_f32_e32 v61, 0xbf0a6770, v49
	v_fmac_f32_e32 v60, 0x3f575c64, v46
	v_add_f32_e32 v72, v60, v72
	v_fma_f32 v60, v47, s12, -v61
	v_fmac_f32_e32 v62, 0xbe11bafb, v47
	v_add_f32_e32 v78, v60, v79
	v_mul_f32_e32 v60, 0xbe903f40, v50
	v_add_f32_e32 v62, v62, v77
	v_mov_b32_e32 v77, v61
	v_fma_f32 v61, v46, s16, -v60
	v_add_f32_e32 v87, v87, v91
	v_add_f32_e32 v79, v61, v82
	v_mul_f32_e32 v61, 0xbe903f40, v49
	v_fmac_f32_e32 v60, 0xbf75a155, v46
	v_add_f32_e32 v89, v89, v93
	v_add_f32_e32 v83, v83, v87
	;; [unrolled: 1-line block ×3, first 2 shown]
	v_fma_f32 v60, v47, s16, -v61
	v_mul_f32_e32 v50, 0x3f68dda4, v50
	v_add_f32_e32 v85, v85, v89
	v_fmac_f32_e32 v77, 0x3f575c64, v47
	v_add_f32_e32 v82, v60, v83
	v_fma_f32 v60, v46, s13, -v50
	v_mul_f32_e32 v49, 0x3f68dda4, v49
	v_add_f32_e32 v88, v88, v92
	v_add_f32_e32 v90, v90, v94
	;; [unrolled: 1-line block ×3, first 2 shown]
	v_mov_b32_e32 v80, v61
	v_add_f32_e32 v83, v60, v85
	v_mov_b32_e32 v60, v49
	v_fmac_f32_e32 v50, 0x3ed4b147, v46
	v_add_f32_e32 v84, v84, v88
	v_add_f32_e32 v86, v86, v90
	v_fmac_f32_e32 v80, 0xbf75a155, v47
	v_fmac_f32_e32 v60, 0x3ed4b147, v47
	v_add_f32_e32 v85, v50, v0
	v_fma_f32 v0, v47, s13, -v49
	v_add_f32_e32 v88, v56, v58
	v_sub_f32_e32 v58, v56, v58
	v_add_f32_e32 v80, v80, v84
	v_add_f32_e32 v84, v60, v86
	;; [unrolled: 1-line block ×4, first 2 shown]
	v_mul_f32_e32 v0, 0xbe903f40, v58
	v_fma_f32 v1, v87, s16, -v0
	v_fmac_f32_e32 v0, 0xbf75a155, v87
	v_add_f32_e32 v0, v0, v48
	v_mul_f32_e32 v48, 0x3f0a6770, v58
	v_sub_f32_e32 v89, v55, v57
	v_fma_f32 v49, v87, s12, -v48
	v_add_f32_e32 v60, v49, v54
	v_mul_f32_e32 v49, 0x3f0a6770, v89
	v_mov_b32_e32 v50, v49
	v_add_f32_e32 v46, v1, v52
	v_mul_f32_e32 v1, 0xbe903f40, v89
	v_fmac_f32_e32 v50, 0x3f575c64, v88
	v_fmac_f32_e32 v48, 0x3f575c64, v87
	v_mov_b32_e32 v47, v1
	v_fma_f32 v1, v88, s16, -v1
	v_add_f32_e32 v61, v50, v62
	v_add_f32_e32 v50, v48, v53
	v_fma_f32 v48, v88, s12, -v49
	v_add_f32_e32 v1, v1, v51
	v_add_f32_e32 v51, v48, v63
	v_mul_f32_e32 v48, 0xbf4178ce, v58
	v_fma_f32 v49, v87, s15, -v48
	v_add_f32_e32 v62, v49, v71
	v_mul_f32_e32 v49, 0xbf4178ce, v89
	v_mov_b32_e32 v52, v49
	v_fmac_f32_e32 v52, 0xbf27a4f4, v88
	v_add_f32_e32 v63, v52, v77
	v_mul_f32_e32 v52, 0x3f68dda4, v58
	v_fma_f32 v53, v87, s13, -v52
	v_add_f32_e32 v56, v53, v79
	v_mul_f32_e32 v53, 0x3f68dda4, v89
	v_mov_b32_e32 v54, v53
	v_fmac_f32_e32 v54, 0x3ed4b147, v88
	v_fmac_f32_e32 v52, 0x3ed4b147, v87
	v_add_f32_e32 v57, v54, v80
	v_add_f32_e32 v54, v52, v81
	v_fma_f32 v52, v88, s13, -v53
	v_add_f32_e32 v55, v52, v82
	v_mul_f32_e32 v52, 0xbf7d64f0, v58
	v_fma_f32 v53, v87, s14, -v52
	v_fmac_f32_e32 v47, 0xbf75a155, v88
	v_add_f32_e32 v58, v53, v83
	v_mul_f32_e32 v53, 0xbf7d64f0, v89
	v_add_f32_e32 v47, v47, v59
	v_mov_b32_e32 v59, v53
	v_fmac_f32_e32 v48, 0xbf27a4f4, v87
	v_fma_f32 v49, v88, s15, -v49
	v_fmac_f32_e32 v59, 0xbe11bafb, v88
	v_fmac_f32_e32 v52, 0xbe11bafb, v87
	v_fma_f32 v53, v88, s14, -v53
	v_add_f32_e32 v48, v48, v72
	v_add_f32_e32 v49, v49, v78
	;; [unrolled: 1-line block ×5, first 2 shown]
	ds_write2_b64 v73, v[44:45], v[46:47] offset1:143
	ds_write2_b64 v70, v[60:61], v[62:63] offset0:30 offset1:173
	ds_write2_b64 v69, v[56:57], v[58:59] offset0:60 offset1:203
	;; [unrolled: 1-line block ×4, first 2 shown]
	ds_write_b64 v73, v[0:1] offset:11440
	s_waitcnt lgkmcnt(0)
	s_barrier
	s_and_saveexec_b64 s[2:3], s[0:1]
	s_cbranch_execz .LBB0_9
; %bb.8:
	v_mov_b32_e32 v67, s11
	v_add_co_u32_e32 v79, vcc, s10, v73
	v_addc_co_u32_e32 v80, vcc, 0, v67, vcc
	v_add_co_u32_e32 v67, vcc, 0x3128, v79
	v_addc_co_u32_e32 v68, vcc, 0, v80, vcc
	global_load_dwordx2 v[71:72], v[67:68], off offset:968
	v_add_co_u32_e32 v69, vcc, 0x3000, v79
	v_addc_co_u32_e32 v70, vcc, 0, v80, vcc
	global_load_dwordx2 v[77:78], v[69:70], off offset:296
	global_load_dwordx2 v[93:94], v[67:68], off offset:1936
	;; [unrolled: 1-line block ×4, first 2 shown]
	s_movk_i32 s12, 0x4000
	v_add_co_u32_e32 v67, vcc, s12, v79
	v_addc_co_u32_e32 v68, vcc, 0, v80, vcc
	global_load_dwordx2 v[99:100], v[67:68], off offset:1040
	global_load_dwordx2 v[101:102], v[67:68], off offset:2008
	;; [unrolled: 1-line block ×4, first 2 shown]
	s_movk_i32 s12, 0x5000
	v_add_co_u32_e32 v67, vcc, s12, v79
	v_addc_co_u32_e32 v68, vcc, 0, v80, vcc
	global_load_dwordx2 v[107:108], v[67:68], off offset:816
	global_load_dwordx2 v[109:110], v[67:68], off offset:1784
	global_load_dwordx2 v[111:112], v[67:68], off offset:2752
	global_load_dwordx2 v[113:114], v[67:68], off offset:3720
	ds_read2_b64 v[67:70], v73 offset1:121
	v_add_u32_e32 v115, 0x400, v73
	v_add_u32_e32 v116, 0xc00, v73
	;; [unrolled: 1-line block ×5, first 2 shown]
	s_waitcnt vmcnt(12) lgkmcnt(0)
	v_mul_f32_e32 v80, v70, v72
	v_mul_f32_e32 v79, v69, v72
	s_waitcnt vmcnt(11)
	v_mul_f32_e32 v81, v68, v78
	v_mul_f32_e32 v72, v67, v78
	v_fma_f32 v78, v69, v71, -v80
	v_fmac_f32_e32 v79, v70, v71
	v_fma_f32 v71, v67, v77, -v81
	v_fmac_f32_e32 v72, v68, v77
	ds_write2_b64 v73, v[71:72], v[78:79] offset1:121
	ds_read2_b64 v[67:70], v115 offset0:114 offset1:235
	ds_read2_b64 v[77:80], v116 offset0:100 offset1:221
	;; [unrolled: 1-line block ×5, first 2 shown]
	s_waitcnt vmcnt(10) lgkmcnt(4)
	v_mul_f32_e32 v71, v68, v94
	v_mul_f32_e32 v72, v67, v94
	s_waitcnt vmcnt(9)
	v_mul_f32_e32 v120, v70, v96
	v_mul_f32_e32 v94, v69, v96
	s_waitcnt vmcnt(8) lgkmcnt(3)
	v_mul_f32_e32 v121, v78, v98
	v_mul_f32_e32 v96, v77, v98
	s_waitcnt vmcnt(7)
	v_mul_f32_e32 v122, v80, v100
	v_mul_f32_e32 v98, v79, v100
	;; [unrolled: 6-line block ×4, first 2 shown]
	v_fma_f32 v71, v67, v93, -v71
	v_fmac_f32_e32 v72, v68, v93
	v_fma_f32 v93, v69, v95, -v120
	v_fmac_f32_e32 v94, v70, v95
	;; [unrolled: 2-line block ×8, first 2 shown]
	ds_write2_b64 v115, v[71:72], v[93:94] offset0:114 offset1:235
	ds_write2_b64 v116, v[95:96], v[97:98] offset0:100 offset1:221
	;; [unrolled: 1-line block ×4, first 2 shown]
	ds_read_b64 v[69:70], v73 offset:11616
	s_waitcnt vmcnt(2) lgkmcnt(5)
	v_mul_f32_e32 v108, v90, v110
	v_mul_f32_e32 v68, v89, v110
	s_waitcnt vmcnt(1)
	v_mul_f32_e32 v71, v92, v112
	v_mul_f32_e32 v72, v91, v112
	v_fma_f32 v67, v89, v109, -v108
	v_fmac_f32_e32 v68, v90, v109
	v_fma_f32 v71, v91, v111, -v71
	v_fmac_f32_e32 v72, v92, v111
	ds_write2_b64 v119, v[67:68], v[71:72] offset0:58 offset1:179
	s_waitcnt vmcnt(0) lgkmcnt(1)
	v_mul_f32_e32 v67, v70, v114
	v_mul_f32_e32 v68, v69, v114
	v_fma_f32 v67, v69, v113, -v67
	v_fmac_f32_e32 v68, v70, v113
	ds_write_b64 v73, v[67:68] offset:11616
.LBB0_9:
	s_or_b64 exec, exec, s[2:3]
	s_waitcnt lgkmcnt(0)
	s_barrier
	s_and_saveexec_b64 s[2:3], s[0:1]
	s_cbranch_execz .LBB0_11
; %bb.10:
	v_add_u32_e32 v0, 0x400, v73
	ds_read2_b64 v[60:63], v0 offset0:114 offset1:235
	v_add_u32_e32 v0, 0xc00, v73
	ds_read2_b64 v[56:59], v0 offset0:100 offset1:221
	;; [unrolled: 2-line block ×4, first 2 shown]
	v_add_u32_e32 v0, 0x2400, v73
	ds_read2_b64 v[44:47], v73 offset1:121
	ds_read2_b64 v[0:3], v0 offset0:58 offset1:179
	ds_read_b64 v[65:66], v73 offset:11616
.LBB0_11:
	s_or_b64 exec, exec, s[2:3]
	s_waitcnt lgkmcnt(0)
	s_barrier
	s_and_saveexec_b64 s[2:3], s[0:1]
	s_cbranch_execz .LBB0_13
; %bb.12:
	v_add_f32_e32 v91, v66, v47
	v_mul_f32_e32 v92, 0xbf788fa5, v91
	v_add_f32_e32 v93, v3, v61
	v_sub_f32_e32 v77, v46, v65
	v_mov_b32_e32 v67, v92
	v_mul_f32_e32 v94, 0x3f62ad3f, v93
	v_fmac_f32_e32 v67, 0x3e750f2a, v77
	v_sub_f32_e32 v78, v60, v2
	v_mov_b32_e32 v68, v94
	v_add_f32_e32 v95, v1, v63
	v_add_f32_e32 v67, v45, v67
	v_fmac_f32_e32 v68, 0xbeedf032, v78
	v_mul_f32_e32 v96, 0xbf3f9e67, v95
	v_add_f32_e32 v67, v68, v67
	v_sub_f32_e32 v79, v62, v0
	v_mov_b32_e32 v68, v96
	v_add_f32_e32 v97, v51, v57
	v_fmac_f32_e32 v68, 0x3f29c268, v79
	v_mul_f32_e32 v98, 0x3f116cb1, v97
	v_add_f32_e32 v67, v68, v67
	v_sub_f32_e32 v80, v56, v50
	v_mov_b32_e32 v68, v98
	;; [unrolled: 6-line block ×4, first 2 shown]
	v_sub_f32_e32 v103, v47, v66
	v_fmac_f32_e32 v68, 0xbf7e222b, v82
	v_mul_f32_e32 v104, 0xbe750f2a, v103
	v_sub_f32_e32 v105, v61, v3
	v_add_f32_e32 v68, v68, v67
	v_add_f32_e32 v83, v65, v46
	v_mov_b32_e32 v67, v104
	v_mul_f32_e32 v106, 0x3eedf032, v105
	v_fmac_f32_e32 v67, 0xbf788fa5, v83
	v_add_f32_e32 v84, v2, v60
	v_mov_b32_e32 v69, v106
	v_sub_f32_e32 v107, v63, v1
	v_add_f32_e32 v67, v44, v67
	v_fmac_f32_e32 v69, 0x3f62ad3f, v84
	v_mul_f32_e32 v108, 0xbf29c268, v107
	v_add_f32_e32 v67, v69, v67
	v_add_f32_e32 v85, v0, v62
	v_mov_b32_e32 v69, v108
	v_sub_f32_e32 v109, v57, v51
	v_fmac_f32_e32 v69, 0xbf3f9e67, v85
	v_mul_f32_e32 v110, 0x3f52af12, v109
	v_add_f32_e32 v67, v69, v67
	v_add_f32_e32 v86, v50, v56
	v_mov_b32_e32 v69, v110
	v_sub_f32_e32 v111, v59, v49
	;; [unrolled: 6-line block ×3, first 2 shown]
	v_fmac_f32_e32 v69, 0xbeb58ec6, v87
	v_mul_f32_e32 v114, 0x3f7e222b, v113
	v_add_f32_e32 v67, v69, v67
	v_add_f32_e32 v88, v54, v52
	v_mov_b32_e32 v69, v114
	v_fmac_f32_e32 v69, 0x3df6dbef, v88
	v_mul_f32_e32 v115, 0xbf3f9e67, v91
	v_add_f32_e32 v67, v69, v67
	v_mov_b32_e32 v69, v115
	v_mul_f32_e32 v116, 0x3df6dbef, v93
	v_fmac_f32_e32 v69, 0x3f29c268, v77
	v_mov_b32_e32 v70, v116
	v_add_f32_e32 v69, v45, v69
	v_fmac_f32_e32 v70, 0xbf7e222b, v78
	v_mul_f32_e32 v117, 0x3f116cb1, v95
	v_add_f32_e32 v69, v70, v69
	v_mov_b32_e32 v70, v117
	v_fmac_f32_e32 v70, 0x3f52af12, v79
	v_mul_f32_e32 v118, 0xbf788fa5, v97
	v_add_f32_e32 v69, v70, v69
	v_mov_b32_e32 v70, v118
	v_fmac_f32_e32 v70, 0xbe750f2a, v80
	v_mul_f32_e32 v119, 0x3f62ad3f, v99
	v_add_f32_e32 v69, v70, v69
	v_mov_b32_e32 v70, v119
	v_fmac_f32_e32 v70, 0xbeedf032, v81
	v_mul_f32_e32 v120, 0xbeb58ec6, v101
	v_add_f32_e32 v69, v70, v69
	v_mov_b32_e32 v70, v120
	v_fmac_f32_e32 v70, 0x3f6f5d39, v82
	v_mul_f32_e32 v121, 0xbf29c268, v103
	v_add_f32_e32 v70, v70, v69
	v_mov_b32_e32 v69, v121
	v_mul_f32_e32 v122, 0x3f7e222b, v105
	v_fmac_f32_e32 v69, 0xbf3f9e67, v83
	v_mov_b32_e32 v71, v122
	v_add_f32_e32 v69, v44, v69
	v_fmac_f32_e32 v71, 0x3df6dbef, v84
	v_mul_f32_e32 v123, 0xbf52af12, v107
	v_add_f32_e32 v69, v71, v69
	v_mov_b32_e32 v71, v123
	v_fmac_f32_e32 v71, 0x3f116cb1, v85
	v_mul_f32_e32 v124, 0x3e750f2a, v109
	v_add_f32_e32 v69, v71, v69
	v_mov_b32_e32 v71, v124
	v_fmac_f32_e32 v71, 0xbf788fa5, v86
	v_mul_f32_e32 v125, 0x3eedf032, v111
	v_add_f32_e32 v69, v71, v69
	v_mov_b32_e32 v71, v125
	v_fmac_f32_e32 v71, 0x3f62ad3f, v87
	v_mul_f32_e32 v126, 0xbf6f5d39, v113
	;; [unrolled: 24-line block ×3, first 2 shown]
	v_add_f32_e32 v71, v72, v71
	v_mov_b32_e32 v72, v132
	v_fmac_f32_e32 v72, 0xbf52af12, v82
	v_mul_f32_e32 v133, 0xbf6f5d39, v103
	v_add_f32_e32 v72, v72, v71
	v_mov_b32_e32 v71, v133
	v_mul_f32_e32 v134, 0x3f29c268, v105
	v_fmac_f32_e32 v71, 0xbeb58ec6, v83
	v_mov_b32_e32 v89, v134
	v_add_f32_e32 v71, v44, v71
	v_fmac_f32_e32 v89, 0xbf3f9e67, v84
	v_mul_f32_e32 v135, 0x3eedf032, v107
	v_add_f32_e32 v47, v47, v45
	v_add_f32_e32 v71, v89, v71
	v_mov_b32_e32 v89, v135
	v_add_f32_e32 v47, v61, v47
	v_fmac_f32_e32 v89, 0x3f62ad3f, v85
	v_mul_f32_e32 v136, 0xbf7e222b, v109
	v_add_f32_e32 v61, v63, v47
	v_add_f32_e32 v71, v89, v71
	;; [unrolled: 6-line block ×3, first 2 shown]
	v_mov_b32_e32 v89, v137
	v_add_f32_e32 v46, v46, v44
	v_add_f32_e32 v53, v53, v59
	v_fmac_f32_e32 v89, 0xbf788fa5, v87
	v_mul_f32_e32 v138, 0x3f52af12, v113
	v_add_f32_e32 v46, v60, v46
	v_add_f32_e32 v53, v55, v53
	v_add_f32_e32 v71, v89, v71
	v_mov_b32_e32 v89, v138
	v_add_f32_e32 v46, v62, v46
	v_add_f32_e32 v49, v49, v53
	v_fmac_f32_e32 v89, 0x3f116cb1, v88
	v_mul_f32_e32 v139, 0x3df6dbef, v91
	v_add_f32_e32 v46, v56, v46
	v_add_f32_e32 v49, v51, v49
	;; [unrolled: 1-line block ×3, first 2 shown]
	v_mov_b32_e32 v89, v139
	v_mul_f32_e32 v140, 0xbf788fa5, v93
	v_add_f32_e32 v58, v58, v46
	v_add_f32_e32 v1, v1, v49
	v_fmac_f32_e32 v89, 0x3f7e222b, v77
	v_mov_b32_e32 v90, v140
	v_add_f32_e32 v1, v3, v1
	v_add_f32_e32 v3, v52, v58
	;; [unrolled: 1-line block ×3, first 2 shown]
	v_fmac_f32_e32 v90, 0x3e750f2a, v78
	v_mul_f32_e32 v141, 0xbeb58ec6, v95
	v_add_f32_e32 v3, v54, v3
	v_add_f32_e32 v89, v90, v89
	v_mov_b32_e32 v90, v141
	v_add_f32_e32 v3, v48, v3
	v_fmac_f32_e32 v90, 0xbf6f5d39, v79
	v_mul_f32_e32 v142, 0x3f62ad3f, v97
	v_add_f32_e32 v3, v50, v3
	v_add_f32_e32 v89, v90, v89
	v_mov_b32_e32 v90, v142
	v_add_f32_e32 v0, v0, v3
	v_fmac_f32_e32 v92, 0xbe750f2a, v77
	v_fmac_f32_e32 v90, 0xbeedf032, v80
	v_mul_f32_e32 v143, 0x3f116cb1, v99
	v_add_f32_e32 v0, v2, v0
	v_add_f32_e32 v2, v45, v92
	v_fmac_f32_e32 v94, 0x3eedf032, v78
	v_add_f32_e32 v89, v90, v89
	v_mov_b32_e32 v90, v143
	v_add_f32_e32 v2, v94, v2
	v_fmac_f32_e32 v96, 0xbf29c268, v79
	v_fmac_f32_e32 v90, 0x3f52af12, v81
	v_mul_f32_e32 v144, 0xbf3f9e67, v101
	v_add_f32_e32 v2, v96, v2
	v_fmac_f32_e32 v98, 0x3f52af12, v80
	v_add_f32_e32 v89, v90, v89
	v_mov_b32_e32 v90, v144
	v_add_f32_e32 v2, v98, v2
	v_fmac_f32_e32 v100, 0xbf6f5d39, v81
	v_fmac_f32_e32 v90, 0x3f29c268, v82
	v_mul_f32_e32 v145, 0xbf7e222b, v103
	s_mov_b32 s12, 0xbf788fa5
	v_add_f32_e32 v2, v100, v2
	v_fmac_f32_e32 v102, 0x3f7e222b, v82
	v_add_f32_e32 v90, v90, v89
	v_mov_b32_e32 v89, v145
	v_mul_f32_e32 v146, 0xbe750f2a, v105
	s_mov_b32 s14, 0x3f62ad3f
	v_add_f32_e32 v3, v102, v2
	v_fma_f32 v2, v83, s12, -v104
	v_fmac_f32_e32 v89, 0x3df6dbef, v83
	v_mov_b32_e32 v147, v146
	s_mov_b32 s13, 0xbf3f9e67
	v_add_f32_e32 v2, v44, v2
	v_fma_f32 v48, v84, s14, -v106
	v_add_f32_e32 v89, v44, v89
	v_fmac_f32_e32 v147, 0xbf788fa5, v84
	s_mov_b32 s15, 0x3f116cb1
	v_add_f32_e32 v2, v48, v2
	v_fma_f32 v48, v85, s13, -v108
	v_add_f32_e32 v89, v147, v89
	v_mul_f32_e32 v147, 0x3f6f5d39, v107
	s_mov_b32 s16, 0xbeb58ec6
	v_add_f32_e32 v2, v48, v2
	v_fma_f32 v48, v86, s15, -v110
	v_mov_b32_e32 v148, v147
	s_mov_b32 s17, 0x3df6dbef
	v_add_f32_e32 v2, v48, v2
	v_fma_f32 v48, v87, s16, -v112
	v_fmac_f32_e32 v148, 0xbeb58ec6, v85
	v_add_f32_e32 v2, v48, v2
	v_fma_f32 v48, v88, s17, -v114
	v_fmac_f32_e32 v115, 0xbf29c268, v77
	v_add_f32_e32 v89, v148, v89
	v_mul_f32_e32 v148, 0x3eedf032, v109
	v_add_f32_e32 v2, v48, v2
	v_add_f32_e32 v48, v45, v115
	v_fmac_f32_e32 v116, 0x3f7e222b, v78
	v_mov_b32_e32 v149, v148
	v_add_f32_e32 v48, v116, v48
	v_fmac_f32_e32 v117, 0xbf52af12, v79
	v_fmac_f32_e32 v149, 0x3f62ad3f, v86
	v_add_f32_e32 v48, v117, v48
	v_fmac_f32_e32 v118, 0x3e750f2a, v80
	v_add_f32_e32 v89, v149, v89
	v_mul_f32_e32 v149, 0xbf52af12, v111
	v_add_f32_e32 v48, v118, v48
	v_fmac_f32_e32 v119, 0x3eedf032, v81
	v_mov_b32_e32 v150, v149
	v_add_f32_e32 v48, v119, v48
	v_fmac_f32_e32 v120, 0xbf6f5d39, v82
	v_fmac_f32_e32 v150, 0x3f116cb1, v87
	v_add_f32_e32 v49, v120, v48
	v_fma_f32 v48, v83, s13, -v121
	v_add_f32_e32 v89, v150, v89
	v_mul_f32_e32 v150, 0xbf29c268, v113
	v_add_f32_e32 v48, v44, v48
	v_fma_f32 v50, v84, s17, -v122
	v_mov_b32_e32 v151, v150
	v_add_f32_e32 v48, v50, v48
	v_fma_f32 v50, v85, s15, -v123
	v_fmac_f32_e32 v151, 0xbf3f9e67, v88
	v_add_f32_e32 v48, v50, v48
	v_fma_f32 v50, v86, s12, -v124
	v_add_f32_e32 v89, v151, v89
	v_mul_f32_e32 v151, 0x3f116cb1, v91
	v_add_f32_e32 v48, v50, v48
	v_fma_f32 v50, v87, s14, -v125
	v_mov_b32_e32 v152, v151
	v_mul_f32_e32 v153, 0xbeb58ec6, v93
	v_add_f32_e32 v48, v50, v48
	v_fma_f32 v50, v88, s16, -v126
	v_fmac_f32_e32 v127, 0xbf6f5d39, v77
	v_fmac_f32_e32 v152, 0x3f52af12, v77
	v_mov_b32_e32 v154, v153
	v_add_f32_e32 v48, v50, v48
	v_add_f32_e32 v50, v45, v127
	v_fmac_f32_e32 v128, 0x3f29c268, v78
	v_add_f32_e32 v152, v45, v152
	v_fmac_f32_e32 v154, 0x3f6f5d39, v78
	v_add_f32_e32 v50, v128, v50
	v_fmac_f32_e32 v129, 0x3eedf032, v79
	v_add_f32_e32 v152, v154, v152
	v_mul_f32_e32 v154, 0xbf788fa5, v95
	v_add_f32_e32 v50, v129, v50
	v_fmac_f32_e32 v130, 0xbf7e222b, v80
	v_mov_b32_e32 v155, v154
	v_add_f32_e32 v50, v130, v50
	v_fmac_f32_e32 v131, 0x3e750f2a, v81
	v_fmac_f32_e32 v155, 0x3e750f2a, v79
	v_mul_f32_e32 v158, 0xbf52af12, v103
	v_add_f32_e32 v50, v131, v50
	v_fmac_f32_e32 v132, 0x3f52af12, v82
	v_add_f32_e32 v152, v155, v152
	v_mul_f32_e32 v155, 0xbf3f9e67, v97
	v_mov_b32_e32 v47, v158
	v_mul_f32_e32 v60, 0xbf6f5d39, v105
	v_add_f32_e32 v51, v132, v50
	v_fma_f32 v50, v83, s16, -v133
	v_mov_b32_e32 v156, v155
	v_fmac_f32_e32 v47, 0x3f116cb1, v83
	v_mov_b32_e32 v62, v60
	v_add_f32_e32 v50, v44, v50
	v_fma_f32 v52, v84, s13, -v134
	v_fmac_f32_e32 v156, 0xbf29c268, v80
	v_add_f32_e32 v47, v44, v47
	v_fmac_f32_e32 v62, 0xbeb58ec6, v84
	v_add_f32_e32 v50, v52, v50
	v_fma_f32 v52, v85, s14, -v135
	v_add_f32_e32 v152, v156, v152
	v_mul_f32_e32 v156, 0x3df6dbef, v99
	v_add_f32_e32 v47, v62, v47
	v_mul_f32_e32 v62, 0xbe750f2a, v107
	v_add_f32_e32 v50, v52, v50
	v_fma_f32 v52, v86, s17, -v136
	v_mov_b32_e32 v157, v156
	v_mov_b32_e32 v63, v62
	v_mul_f32_e32 v61, 0x3f29c268, v109
	v_add_f32_e32 v50, v52, v50
	v_fma_f32 v52, v87, s12, -v137
	v_fmac_f32_e32 v157, 0xbf7e222b, v81
	v_fmac_f32_e32 v63, 0xbf788fa5, v85
	v_mov_b32_e32 v46, v61
	v_add_f32_e32 v50, v52, v50
	v_fma_f32 v52, v88, s15, -v138
	v_fmac_f32_e32 v139, 0xbf7e222b, v77
	v_add_f32_e32 v152, v157, v152
	v_mul_f32_e32 v157, 0x3f62ad3f, v101
	v_add_f32_e32 v63, v63, v47
	v_fmac_f32_e32 v46, 0xbf3f9e67, v86
	v_add_f32_e32 v50, v52, v50
	v_add_f32_e32 v52, v45, v139
	v_fmac_f32_e32 v140, 0xbe750f2a, v78
	v_mov_b32_e32 v47, v157
	v_add_f32_e32 v46, v46, v63
	v_mul_f32_e32 v63, 0x3f7e222b, v111
	v_add_f32_e32 v52, v140, v52
	v_fmac_f32_e32 v141, 0x3f6f5d39, v79
	v_fmac_f32_e32 v47, 0xbeedf032, v82
	v_mov_b32_e32 v56, v63
	v_add_f32_e32 v52, v141, v52
	v_fmac_f32_e32 v142, 0x3eedf032, v80
	v_add_f32_e32 v47, v47, v152
	v_fmac_f32_e32 v56, 0x3df6dbef, v87
	v_mul_f32_e32 v152, 0x3eedf032, v113
	v_add_f32_e32 v52, v142, v52
	v_fmac_f32_e32 v143, 0xbf52af12, v81
	v_add_f32_e32 v46, v56, v46
	v_mov_b32_e32 v56, v152
	v_add_f32_e32 v52, v143, v52
	v_fmac_f32_e32 v144, 0xbf29c268, v82
	v_fmac_f32_e32 v56, 0x3f62ad3f, v88
	v_mul_f32_e32 v91, 0x3f62ad3f, v91
	v_add_f32_e32 v53, v144, v52
	v_fma_f32 v52, v83, s17, -v145
	v_add_f32_e32 v46, v56, v46
	v_mov_b32_e32 v56, v91
	v_mul_f32_e32 v93, 0x3f116cb1, v93
	v_add_f32_e32 v52, v44, v52
	v_fma_f32 v54, v84, s12, -v146
	v_fmac_f32_e32 v56, 0x3eedf032, v77
	v_mov_b32_e32 v57, v93
	v_add_f32_e32 v52, v54, v52
	v_fma_f32 v54, v85, s16, -v147
	v_add_f32_e32 v56, v45, v56
	v_fmac_f32_e32 v57, 0x3f52af12, v78
	v_mul_f32_e32 v95, 0x3df6dbef, v95
	v_add_f32_e32 v52, v54, v52
	v_fma_f32 v54, v86, s14, -v148
	v_add_f32_e32 v56, v57, v56
	v_mov_b32_e32 v57, v95
	v_add_f32_e32 v52, v54, v52
	v_fma_f32 v54, v87, s15, -v149
	v_fmac_f32_e32 v57, 0x3f7e222b, v79
	v_mul_f32_e32 v97, 0xbeb58ec6, v97
	v_add_f32_e32 v52, v54, v52
	v_fma_f32 v54, v88, s13, -v150
	v_fmac_f32_e32 v151, 0xbf52af12, v77
	v_add_f32_e32 v56, v57, v56
	v_mov_b32_e32 v57, v97
	v_add_f32_e32 v52, v54, v52
	v_add_f32_e32 v54, v45, v151
	v_fmac_f32_e32 v153, 0xbf6f5d39, v78
	v_fmac_f32_e32 v57, 0x3f6f5d39, v80
	v_mul_f32_e32 v99, 0xbf3f9e67, v99
	v_add_f32_e32 v54, v153, v54
	v_fmac_f32_e32 v154, 0xbe750f2a, v79
	v_add_f32_e32 v56, v57, v56
	v_mov_b32_e32 v57, v99
	v_add_f32_e32 v54, v154, v54
	v_fmac_f32_e32 v155, 0x3f29c268, v80
	v_fmac_f32_e32 v57, 0x3f29c268, v81
	v_mul_f32_e32 v103, 0xbeedf032, v103
	v_add_f32_e32 v54, v155, v54
	v_fmac_f32_e32 v156, 0x3f7e222b, v81
	v_add_f32_e32 v56, v57, v56
	v_mov_b32_e32 v57, v103
	v_mul_f32_e32 v105, 0xbf52af12, v105
	v_add_f32_e32 v54, v156, v54
	v_fmac_f32_e32 v157, 0x3eedf032, v82
	v_fmac_f32_e32 v57, 0x3f62ad3f, v83
	v_mov_b32_e32 v159, v105
	v_add_f32_e32 v55, v157, v54
	v_fma_f32 v54, v83, s15, -v158
	v_add_f32_e32 v57, v44, v57
	v_fmac_f32_e32 v159, 0x3f116cb1, v84
	v_mul_f32_e32 v107, 0xbf7e222b, v107
	v_add_f32_e32 v54, v44, v54
	v_fma_f32 v58, v84, s16, -v60
	v_add_f32_e32 v57, v159, v57
	v_mov_b32_e32 v159, v107
	v_add_f32_e32 v54, v58, v54
	v_fma_f32 v58, v85, s12, -v62
	v_fmac_f32_e32 v159, 0x3df6dbef, v85
	v_mul_f32_e32 v109, 0xbf6f5d39, v109
	v_add_f32_e32 v54, v58, v54
	v_fma_f32 v58, v86, s13, -v61
	v_add_f32_e32 v57, v159, v57
	v_mov_b32_e32 v159, v109
	v_add_f32_e32 v54, v58, v54
	v_fma_f32 v58, v87, s17, -v63
	;; [unrolled: 8-line block ×3, first 2 shown]
	v_fmac_f32_e32 v159, 0xbf3f9e67, v87
	v_mul_f32_e32 v101, 0xbf788fa5, v101
	v_fmac_f32_e32 v91, 0xbeedf032, v77
	v_add_f32_e32 v44, v44, v58
	v_fma_f32 v58, v84, s15, -v105
	v_add_f32_e32 v159, v159, v57
	v_mov_b32_e32 v57, v101
	v_add_f32_e32 v45, v45, v91
	v_fmac_f32_e32 v93, 0xbf52af12, v78
	v_add_f32_e32 v44, v58, v44
	v_fma_f32 v58, v85, s17, -v107
	v_fmac_f32_e32 v57, 0x3e750f2a, v82
	v_mul_f32_e32 v113, 0xbe750f2a, v113
	v_add_f32_e32 v45, v93, v45
	v_fmac_f32_e32 v95, 0xbf7e222b, v79
	v_add_f32_e32 v44, v58, v44
	v_fma_f32 v58, v86, s16, -v109
	v_add_f32_e32 v57, v57, v56
	v_mov_b32_e32 v56, v113
	v_add_f32_e32 v45, v95, v45
	v_fmac_f32_e32 v97, 0xbf6f5d39, v80
	v_add_f32_e32 v44, v58, v44
	v_fma_f32 v58, v87, s13, -v111
	v_fmac_f32_e32 v56, 0xbf788fa5, v88
	v_add_f32_e32 v45, v97, v45
	v_fmac_f32_e32 v99, 0xbf29c268, v81
	v_add_f32_e32 v44, v58, v44
	v_fma_f32 v58, v88, s12, -v113
	v_add_f32_e32 v56, v56, v159
	v_add_f32_e32 v1, v66, v1
	;; [unrolled: 1-line block ×4, first 2 shown]
	v_fmac_f32_e32 v101, 0xbe750f2a, v82
	v_add_f32_e32 v44, v58, v44
	v_lshlrev_b32_e32 v58, 3, v75
	v_add_f32_e32 v45, v101, v45
	ds_write2_b64 v58, v[0:1], v[56:57] offset1:1
	ds_write2_b64 v58, v[46:47], v[89:90] offset0:2 offset1:3
	ds_write2_b64 v58, v[71:72], v[69:70] offset0:4 offset1:5
	;; [unrolled: 1-line block ×5, first 2 shown]
	ds_write_b64 v58, v[44:45] offset:96
.LBB0_13:
	s_or_b64 exec, exec, s[2:3]
	s_waitcnt lgkmcnt(0)
	s_barrier
	ds_read2_b64 v[44:47], v73 offset1:143
	v_add_u32_e32 v2, 0x800, v73
	ds_read2_b64 v[48:51], v2 offset0:30 offset1:173
	v_add_u32_e32 v1, 0x1000, v73
	ds_read2_b64 v[52:55], v1 offset0:60 offset1:203
	;; [unrolled: 2-line block ×3, first 2 shown]
	s_waitcnt lgkmcnt(3)
	v_mul_f32_e32 v67, v17, v47
	v_mul_f32_e32 v17, v17, v46
	v_fmac_f32_e32 v67, v16, v46
	v_fma_f32 v16, v16, v47, -v17
	s_waitcnt lgkmcnt(2)
	v_mul_f32_e32 v17, v19, v49
	v_mul_f32_e32 v19, v19, v48
	v_add_u32_e32 v3, 0x2200, v73
	v_fmac_f32_e32 v17, v18, v48
	v_fma_f32 v18, v18, v49, -v19
	v_mul_f32_e32 v19, v13, v51
	v_mul_f32_e32 v13, v13, v50
	ds_read2_b64 v[60:63], v3 offset0:56 offset1:199
	ds_read_b64 v[65:66], v73 offset:11440
	v_fmac_f32_e32 v19, v12, v50
	v_fma_f32 v12, v12, v51, -v13
	s_waitcnt lgkmcnt(3)
	v_mul_f32_e32 v13, v15, v53
	v_mul_f32_e32 v15, v15, v52
	v_fmac_f32_e32 v13, v14, v52
	v_fma_f32 v14, v14, v53, -v15
	v_mul_f32_e32 v15, v9, v55
	v_mul_f32_e32 v9, v9, v54
	v_fmac_f32_e32 v15, v8, v54
	v_fma_f32 v8, v8, v55, -v9
	s_waitcnt lgkmcnt(2)
	v_mul_f32_e32 v9, v11, v57
	v_mul_f32_e32 v11, v11, v56
	v_fmac_f32_e32 v9, v10, v56
	v_fma_f32 v10, v10, v57, -v11
	v_mul_f32_e32 v11, v5, v59
	v_mul_f32_e32 v5, v5, v58
	;; [unrolled: 9-line block ×3, first 2 shown]
	v_add_f32_e32 v5, v45, v16
	v_fmac_f32_e32 v7, v20, v62
	v_fma_f32 v20, v20, v63, -v4
	s_waitcnt lgkmcnt(0)
	v_mul_f32_e32 v21, v23, v66
	v_mul_f32_e32 v4, v23, v65
	v_add_f32_e32 v5, v5, v18
	v_fmac_f32_e32 v21, v22, v65
	v_fma_f32 v22, v22, v66, -v4
	v_add_f32_e32 v4, v44, v67
	v_add_f32_e32 v5, v5, v12
	;; [unrolled: 1-line block ×15, first 2 shown]
	v_sub_f32_e32 v16, v16, v22
	v_add_f32_e32 v4, v4, v47
	v_add_f32_e32 v5, v5, v22
	v_mul_f32_e32 v22, 0xbf0a6770, v16
	v_mul_f32_e32 v52, 0xbf68dda4, v16
	;; [unrolled: 1-line block ×5, first 2 shown]
	v_add_f32_e32 v4, v4, v7
	v_add_f32_e32 v23, v67, v21
	s_mov_b32 s13, 0x3f575c64
	v_mov_b32_e32 v49, v22
	v_mul_f32_e32 v50, 0x3f575c64, v48
	s_mov_b32 s3, 0x3ed4b147
	v_mov_b32_e32 v53, v52
	v_mul_f32_e32 v54, 0x3ed4b147, v48
	;; [unrolled: 3-line block ×5, first 2 shown]
	v_add_f32_e32 v4, v4, v21
	v_sub_f32_e32 v21, v67, v21
	v_fmac_f32_e32 v49, 0x3f575c64, v23
	v_mov_b32_e32 v51, v50
	v_fma_f32 v22, v23, s13, -v22
	v_fmac_f32_e32 v53, 0x3ed4b147, v23
	v_mov_b32_e32 v55, v54
	v_fma_f32 v52, v23, s3, -v52
	;; [unrolled: 3-line block ×5, first 2 shown]
	v_add_f32_e32 v49, v44, v49
	v_fmac_f32_e32 v51, 0x3f0a6770, v21
	v_add_f32_e32 v22, v44, v22
	v_fmac_f32_e32 v50, 0xbf0a6770, v21
	;; [unrolled: 2-line block ×10, first 2 shown]
	v_add_f32_e32 v23, v17, v7
	v_add_f32_e32 v44, v18, v20
	v_sub_f32_e32 v7, v17, v7
	v_sub_f32_e32 v17, v18, v20
	v_add_f32_e32 v51, v45, v51
	v_add_f32_e32 v50, v45, v50
	;; [unrolled: 1-line block ×10, first 2 shown]
	v_mul_f32_e32 v18, 0xbf68dda4, v17
	v_mul_f32_e32 v45, 0x3ed4b147, v44
	v_mov_b32_e32 v20, v18
	v_mov_b32_e32 v48, v45
	v_fma_f32 v18, v23, s3, -v18
	v_fmac_f32_e32 v45, 0xbf68dda4, v7
	v_fmac_f32_e32 v20, 0x3ed4b147, v23
	v_add_f32_e32 v18, v18, v22
	v_add_f32_e32 v22, v45, v50
	v_mul_f32_e32 v45, 0xbf4178ce, v17
	v_add_f32_e32 v20, v20, v49
	v_mov_b32_e32 v49, v45
	v_fma_f32 v45, v23, s14, -v45
	v_fmac_f32_e32 v48, 0x3f68dda4, v7
	v_fmac_f32_e32 v49, 0xbf27a4f4, v23
	v_mul_f32_e32 v50, 0xbf27a4f4, v44
	v_add_f32_e32 v45, v45, v52
	v_mul_f32_e32 v52, 0x3e903f40, v17
	v_add_f32_e32 v48, v48, v51
	v_add_f32_e32 v49, v49, v53
	v_mov_b32_e32 v51, v50
	v_fmac_f32_e32 v50, 0xbf4178ce, v7
	v_mov_b32_e32 v53, v52
	v_fma_f32 v52, v23, s15, -v52
	v_fmac_f32_e32 v51, 0x3f4178ce, v7
	v_add_f32_e32 v50, v50, v54
	v_fmac_f32_e32 v53, 0xbf75a155, v23
	v_mul_f32_e32 v54, 0xbf75a155, v44
	v_add_f32_e32 v52, v52, v56
	v_mul_f32_e32 v56, 0x3f7d64f0, v17
	v_add_f32_e32 v51, v51, v55
	v_add_f32_e32 v53, v53, v57
	v_mov_b32_e32 v55, v54
	v_fmac_f32_e32 v54, 0x3e903f40, v7
	v_mov_b32_e32 v57, v56
	v_fmac_f32_e32 v55, 0xbe903f40, v7
	v_add_f32_e32 v54, v54, v58
	v_fmac_f32_e32 v57, 0xbe11bafb, v23
	v_mul_f32_e32 v58, 0xbe11bafb, v44
	v_mul_f32_e32 v44, 0x3f575c64, v44
	v_add_f32_e32 v55, v55, v59
	v_add_f32_e32 v57, v57, v61
	v_mov_b32_e32 v59, v58
	v_mov_b32_e32 v61, v44
	v_fmac_f32_e32 v44, 0x3f0a6770, v7
	v_fmac_f32_e32 v59, 0xbf7d64f0, v7
	v_fma_f32 v56, v23, s12, -v56
	v_fmac_f32_e32 v58, 0x3f7d64f0, v7
	v_mul_f32_e32 v17, 0x3f0a6770, v17
	v_fmac_f32_e32 v61, 0xbf0a6770, v7
	v_add_f32_e32 v7, v44, v21
	v_add_f32_e32 v21, v12, v6
	v_sub_f32_e32 v6, v12, v6
	v_add_f32_e32 v56, v56, v60
	v_mov_b32_e32 v60, v17
	v_fma_f32 v17, v23, s13, -v17
	v_mul_f32_e32 v12, 0xbf7d64f0, v6
	v_fmac_f32_e32 v60, 0x3f575c64, v23
	v_add_f32_e32 v16, v17, v16
	v_add_f32_e32 v17, v19, v47
	v_mov_b32_e32 v23, v12
	v_fmac_f32_e32 v23, 0xbe11bafb, v17
	v_sub_f32_e32 v19, v19, v47
	v_add_f32_e32 v20, v23, v20
	v_mul_f32_e32 v23, 0xbe11bafb, v21
	v_mov_b32_e32 v44, v23
	v_fma_f32 v12, v17, s12, -v12
	v_fmac_f32_e32 v23, 0xbf7d64f0, v19
	v_fmac_f32_e32 v44, 0x3f7d64f0, v19
	v_add_f32_e32 v12, v12, v18
	v_add_f32_e32 v18, v23, v22
	v_mul_f32_e32 v22, 0x3e903f40, v6
	v_mul_f32_e32 v47, 0xbf75a155, v21
	v_add_f32_e32 v44, v44, v48
	v_mov_b32_e32 v23, v22
	v_mov_b32_e32 v48, v47
	v_fma_f32 v22, v17, s15, -v22
	v_fmac_f32_e32 v47, 0x3e903f40, v19
	v_fmac_f32_e32 v23, 0xbf75a155, v17
	v_add_f32_e32 v22, v22, v45
	v_add_f32_e32 v45, v47, v50
	v_mul_f32_e32 v47, 0x3f68dda4, v6
	v_add_f32_e32 v23, v23, v49
	v_mov_b32_e32 v49, v47
	v_fma_f32 v47, v17, s3, -v47
	v_fmac_f32_e32 v49, 0x3ed4b147, v17
	v_add_f32_e32 v47, v47, v52
	v_mul_f32_e32 v52, 0xbf0a6770, v6
	v_fmac_f32_e32 v48, 0xbe903f40, v19
	v_add_f32_e32 v49, v49, v53
	v_mul_f32_e32 v50, 0x3ed4b147, v21
	v_mov_b32_e32 v53, v52
	v_fma_f32 v52, v17, s13, -v52
	v_mul_f32_e32 v6, 0xbf4178ce, v6
	v_add_f32_e32 v48, v48, v51
	v_mov_b32_e32 v51, v50
	v_fmac_f32_e32 v50, 0x3f68dda4, v19
	v_add_f32_e32 v52, v52, v56
	v_mov_b32_e32 v56, v6
	v_fma_f32 v6, v17, s14, -v6
	v_fmac_f32_e32 v51, 0xbf68dda4, v19
	v_add_f32_e32 v50, v50, v54
	v_fmac_f32_e32 v53, 0x3f575c64, v17
	v_mul_f32_e32 v54, 0x3f575c64, v21
	v_mul_f32_e32 v21, 0xbf27a4f4, v21
	v_add_f32_e32 v6, v6, v16
	v_add_f32_e32 v16, v13, v11
	v_sub_f32_e32 v11, v13, v11
	v_sub_f32_e32 v13, v14, v46
	v_add_f32_e32 v51, v51, v55
	v_add_f32_e32 v53, v53, v57
	v_mov_b32_e32 v55, v54
	v_fmac_f32_e32 v56, 0xbf27a4f4, v17
	v_mov_b32_e32 v57, v21
	v_add_f32_e32 v17, v14, v46
	v_mul_f32_e32 v14, 0xbf4178ce, v13
	v_fmac_f32_e32 v55, 0x3f0a6770, v19
	v_fmac_f32_e32 v54, 0xbf0a6770, v19
	;; [unrolled: 1-line block ×4, first 2 shown]
	v_mov_b32_e32 v19, v14
	v_fmac_f32_e32 v19, 0xbf27a4f4, v16
	v_add_f32_e32 v19, v19, v20
	v_mul_f32_e32 v20, 0xbf27a4f4, v17
	v_add_f32_e32 v7, v21, v7
	v_mov_b32_e32 v21, v20
	v_fma_f32 v14, v16, s14, -v14
	v_fmac_f32_e32 v20, 0xbf4178ce, v11
	v_add_f32_e32 v12, v14, v12
	v_add_f32_e32 v14, v20, v18
	v_mul_f32_e32 v18, 0x3f7d64f0, v13
	v_mov_b32_e32 v20, v18
	v_fmac_f32_e32 v20, 0xbe11bafb, v16
	v_fmac_f32_e32 v21, 0x3f4178ce, v11
	v_add_f32_e32 v20, v20, v23
	v_mul_f32_e32 v23, 0xbe11bafb, v17
	v_add_f32_e32 v21, v21, v44
	v_mov_b32_e32 v44, v23
	v_fma_f32 v18, v16, s12, -v18
	v_fmac_f32_e32 v23, 0x3f7d64f0, v11
	v_add_f32_e32 v18, v18, v22
	v_add_f32_e32 v22, v23, v45
	v_mul_f32_e32 v23, 0xbf0a6770, v13
	v_mov_b32_e32 v45, v23
	v_fma_f32 v23, v16, s13, -v23
	v_fmac_f32_e32 v44, 0xbf7d64f0, v11
	v_fmac_f32_e32 v45, 0x3f575c64, v16
	v_mul_f32_e32 v46, 0x3f575c64, v17
	v_add_f32_e32 v23, v23, v47
	v_mul_f32_e32 v47, 0xbe903f40, v13
	v_add_f32_e32 v44, v44, v48
	v_add_f32_e32 v45, v45, v49
	v_mov_b32_e32 v48, v46
	v_fmac_f32_e32 v46, 0xbf0a6770, v11
	v_mov_b32_e32 v49, v47
	v_add_f32_e32 v46, v46, v50
	v_fmac_f32_e32 v49, 0xbf75a155, v16
	v_mul_f32_e32 v50, 0xbf75a155, v17
	v_fma_f32 v47, v16, s15, -v47
	v_mul_f32_e32 v13, 0x3f68dda4, v13
	v_mul_f32_e32 v17, 0x3ed4b147, v17
	v_add_f32_e32 v59, v59, v63
	v_add_f32_e32 v60, v60, v65
	;; [unrolled: 1-line block ×5, first 2 shown]
	v_mov_b32_e32 v52, v13
	v_mov_b32_e32 v53, v17
	v_add_f32_e32 v58, v58, v62
	v_add_f32_e32 v55, v55, v59
	;; [unrolled: 1-line block ×4, first 2 shown]
	v_fmac_f32_e32 v48, 0x3f0a6770, v11
	v_fmac_f32_e32 v52, 0x3ed4b147, v16
	v_fmac_f32_e32 v53, 0xbf68dda4, v11
	v_sub_f32_e32 v59, v8, v10
	v_add_f32_e32 v54, v54, v58
	v_add_f32_e32 v48, v48, v51
	v_mov_b32_e32 v51, v50
	v_fmac_f32_e32 v50, 0xbe903f40, v11
	v_add_f32_e32 v52, v52, v56
	v_add_f32_e32 v53, v53, v57
	v_fma_f32 v13, v16, s3, -v13
	v_add_f32_e32 v56, v15, v9
	v_add_f32_e32 v57, v8, v10
	v_mul_f32_e32 v8, 0xbe903f40, v59
	v_fmac_f32_e32 v51, 0x3e903f40, v11
	v_add_f32_e32 v50, v50, v54
	v_add_f32_e32 v54, v13, v6
	v_fmac_f32_e32 v17, 0x3f68dda4, v11
	v_sub_f32_e32 v58, v15, v9
	v_mov_b32_e32 v6, v8
	v_mul_f32_e32 v9, 0xbf75a155, v57
	v_fma_f32 v8, v56, s15, -v8
	v_add_f32_e32 v51, v51, v55
	v_add_f32_e32 v55, v17, v7
	v_mov_b32_e32 v7, v9
	v_add_f32_e32 v8, v8, v12
	v_fmac_f32_e32 v9, 0xbe903f40, v58
	v_mul_f32_e32 v12, 0x3f0a6770, v59
	v_mul_f32_e32 v13, 0x3f575c64, v57
	;; [unrolled: 1-line block ×3, first 2 shown]
	v_add_f32_e32 v9, v9, v14
	v_mov_b32_e32 v10, v12
	v_mov_b32_e32 v11, v13
	;; [unrolled: 1-line block ×3, first 2 shown]
	v_fmac_f32_e32 v7, 0x3e903f40, v58
	v_fmac_f32_e32 v10, 0x3f575c64, v56
	;; [unrolled: 1-line block ×5, first 2 shown]
	v_add_f32_e32 v7, v7, v21
	v_add_f32_e32 v10, v10, v20
	;; [unrolled: 1-line block ×3, first 2 shown]
	v_fma_f32 v12, v56, s13, -v12
	v_fmac_f32_e32 v13, 0x3f0a6770, v58
	v_add_f32_e32 v14, v14, v45
	v_mul_f32_e32 v17, 0xbf27a4f4, v57
	v_fma_f32 v16, v56, s14, -v16
	v_mul_f32_e32 v20, 0x3f68dda4, v59
	v_mul_f32_e32 v21, 0x3ed4b147, v57
	;; [unrolled: 1-line block ×4, first 2 shown]
	v_add_f32_e32 v6, v6, v19
	v_add_f32_e32 v12, v12, v18
	;; [unrolled: 1-line block ×3, first 2 shown]
	v_mov_b32_e32 v15, v17
	v_add_f32_e32 v16, v16, v23
	v_mov_b32_e32 v18, v20
	v_mov_b32_e32 v19, v21
	;; [unrolled: 1-line block ×4, first 2 shown]
	v_fmac_f32_e32 v15, 0x3f4178ce, v58
	v_fmac_f32_e32 v17, 0xbf4178ce, v58
	;; [unrolled: 1-line block ×4, first 2 shown]
	v_fma_f32 v20, v56, s3, -v20
	v_fmac_f32_e32 v21, 0x3f68dda4, v58
	v_fmac_f32_e32 v22, 0xbe11bafb, v56
	v_fmac_f32_e32 v23, 0x3f7d64f0, v58
	v_fma_f32 v44, v56, s12, -v44
	v_fmac_f32_e32 v45, 0xbf7d64f0, v58
	v_add_f32_e32 v15, v15, v48
	v_add_f32_e32 v17, v17, v46
	;; [unrolled: 1-line block ×10, first 2 shown]
	s_barrier
	ds_write2_b64 v76, v[4:5], v[6:7] offset1:13
	ds_write2_b64 v76, v[10:11], v[14:15] offset0:26 offset1:39
	ds_write2_b64 v76, v[18:19], v[22:23] offset0:52 offset1:65
	;; [unrolled: 1-line block ×4, first 2 shown]
	ds_write_b64 v76, v[8:9] offset:1040
	s_waitcnt lgkmcnt(0)
	s_barrier
	ds_read2_b64 v[4:7], v73 offset1:143
	ds_read2_b64 v[8:11], v2 offset0:30 offset1:173
	ds_read2_b64 v[12:15], v1 offset0:60 offset1:203
	;; [unrolled: 1-line block ×4, first 2 shown]
	ds_read_b64 v[44:45], v73 offset:11440
	s_waitcnt lgkmcnt(5)
	v_mul_f32_e32 v46, v37, v7
	v_fmac_f32_e32 v46, v36, v6
	v_mul_f32_e32 v6, v37, v6
	v_fma_f32 v36, v36, v7, -v6
	s_waitcnt lgkmcnt(4)
	v_mul_f32_e32 v37, v39, v9
	v_mul_f32_e32 v6, v39, v8
	v_fmac_f32_e32 v37, v38, v8
	v_fma_f32 v8, v38, v9, -v6
	v_mul_f32_e32 v9, v33, v11
	v_mul_f32_e32 v6, v33, v10
	v_fmac_f32_e32 v9, v32, v10
	v_fma_f32 v10, v32, v11, -v6
	s_waitcnt lgkmcnt(3)
	v_mul_f32_e32 v11, v35, v13
	v_mul_f32_e32 v6, v35, v12
	v_fmac_f32_e32 v11, v34, v12
	v_fma_f32 v12, v34, v13, -v6
	v_mul_f32_e32 v13, v29, v15
	v_mul_f32_e32 v6, v29, v14
	v_fmac_f32_e32 v13, v28, v14
	v_fma_f32 v14, v28, v15, -v6
	s_waitcnt lgkmcnt(2)
	v_mul_f32_e32 v15, v31, v17
	v_mul_f32_e32 v6, v31, v16
	v_add_f32_e32 v7, v5, v36
	v_fmac_f32_e32 v15, v30, v16
	v_fma_f32 v16, v30, v17, -v6
	v_mul_f32_e32 v17, v25, v19
	v_mul_f32_e32 v6, v25, v18
	v_add_f32_e32 v7, v7, v8
	v_fmac_f32_e32 v17, v24, v18
	v_fma_f32 v18, v24, v19, -v6
	s_waitcnt lgkmcnt(1)
	v_mul_f32_e32 v19, v27, v21
	v_mul_f32_e32 v6, v27, v20
	v_add_f32_e32 v7, v7, v10
	v_fmac_f32_e32 v19, v26, v20
	v_fma_f32 v20, v26, v21, -v6
	v_mul_f32_e32 v21, v41, v23
	v_mul_f32_e32 v6, v41, v22
	v_add_f32_e32 v7, v7, v12
	v_fmac_f32_e32 v21, v40, v22
	v_fma_f32 v22, v40, v23, -v6
	s_waitcnt lgkmcnt(0)
	v_mul_f32_e32 v6, v43, v44
	v_add_f32_e32 v7, v7, v14
	v_fma_f32 v24, v42, v45, -v6
	v_add_f32_e32 v6, v4, v46
	v_add_f32_e32 v7, v7, v16
	v_add_f32_e32 v6, v6, v37
	v_add_f32_e32 v7, v7, v18
	v_add_f32_e32 v6, v6, v9
	v_add_f32_e32 v7, v7, v20
	v_add_f32_e32 v6, v6, v11
	v_add_f32_e32 v7, v7, v22
	v_mul_f32_e32 v23, v43, v45
	v_add_f32_e32 v6, v6, v13
	v_add_f32_e32 v7, v7, v24
	;; [unrolled: 1-line block ×3, first 2 shown]
	v_sub_f32_e32 v24, v36, v24
	v_fmac_f32_e32 v23, v42, v44
	v_add_f32_e32 v6, v6, v15
	v_mul_f32_e32 v27, 0xbf0a6770, v24
	v_mul_f32_e32 v31, 0xbf68dda4, v24
	;; [unrolled: 1-line block ×5, first 2 shown]
	v_add_f32_e32 v6, v6, v17
	v_add_f32_e32 v25, v46, v23
	v_mov_b32_e32 v28, v27
	v_mov_b32_e32 v32, v31
	;; [unrolled: 1-line block ×5, first 2 shown]
	v_add_f32_e32 v6, v6, v19
	v_fmac_f32_e32 v28, 0x3f575c64, v25
	v_fma_f32 v27, v25, s13, -v27
	v_fmac_f32_e32 v32, 0x3ed4b147, v25
	v_fma_f32 v31, v25, s3, -v31
	;; [unrolled: 2-line block ×5, first 2 shown]
	v_add_f32_e32 v6, v6, v21
	v_add_f32_e32 v28, v4, v28
	v_mul_f32_e32 v29, 0x3f575c64, v26
	v_add_f32_e32 v27, v4, v27
	v_add_f32_e32 v32, v4, v32
	v_mul_f32_e32 v33, 0x3ed4b147, v26
	;; [unrolled: 3-line block ×5, first 2 shown]
	v_add_f32_e32 v4, v4, v24
	v_add_f32_e32 v24, v8, v22
	v_sub_f32_e32 v8, v8, v22
	v_add_f32_e32 v6, v6, v23
	v_sub_f32_e32 v23, v46, v23
	v_mov_b32_e32 v30, v29
	v_mov_b32_e32 v34, v33
	;; [unrolled: 1-line block ×5, first 2 shown]
	v_mul_f32_e32 v22, 0xbf68dda4, v8
	v_fmac_f32_e32 v30, 0x3f0a6770, v23
	v_fmac_f32_e32 v29, 0xbf0a6770, v23
	;; [unrolled: 1-line block ×10, first 2 shown]
	v_add_f32_e32 v23, v37, v21
	v_mov_b32_e32 v25, v22
	v_add_f32_e32 v30, v5, v30
	v_add_f32_e32 v29, v5, v29
	;; [unrolled: 1-line block ×10, first 2 shown]
	v_sub_f32_e32 v21, v37, v21
	v_fmac_f32_e32 v25, 0x3ed4b147, v23
	v_mul_f32_e32 v26, 0x3ed4b147, v24
	v_fma_f32 v22, v23, s3, -v22
	v_add_f32_e32 v25, v25, v28
	v_mov_b32_e32 v28, v26
	v_add_f32_e32 v22, v22, v27
	v_fmac_f32_e32 v26, 0xbf68dda4, v21
	v_mul_f32_e32 v27, 0xbf4178ce, v8
	v_fmac_f32_e32 v28, 0x3f68dda4, v21
	v_add_f32_e32 v26, v26, v29
	v_mov_b32_e32 v29, v27
	v_add_f32_e32 v28, v28, v30
	v_fmac_f32_e32 v29, 0xbf27a4f4, v23
	v_mul_f32_e32 v30, 0xbf27a4f4, v24
	v_fma_f32 v27, v23, s14, -v27
	v_add_f32_e32 v29, v29, v32
	v_mov_b32_e32 v32, v30
	v_add_f32_e32 v27, v27, v31
	v_fmac_f32_e32 v30, 0xbf4178ce, v21
	v_mul_f32_e32 v31, 0x3e903f40, v8
	v_fmac_f32_e32 v32, 0x3f4178ce, v21
	v_add_f32_e32 v30, v30, v33
	v_mov_b32_e32 v33, v31
	v_fma_f32 v31, v23, s15, -v31
	v_add_f32_e32 v32, v32, v34
	v_fmac_f32_e32 v33, 0xbf75a155, v23
	v_mul_f32_e32 v34, 0xbf75a155, v24
	v_add_f32_e32 v31, v31, v35
	v_mul_f32_e32 v35, 0x3f7d64f0, v8
	v_add_f32_e32 v33, v33, v36
	v_mov_b32_e32 v36, v34
	v_fmac_f32_e32 v34, 0x3e903f40, v21
	v_mov_b32_e32 v37, v35
	v_fmac_f32_e32 v36, 0xbe903f40, v21
	v_add_f32_e32 v34, v34, v38
	v_fmac_f32_e32 v37, 0xbe11bafb, v23
	v_mul_f32_e32 v38, 0xbe11bafb, v24
	v_mul_f32_e32 v24, 0x3f575c64, v24
	v_add_f32_e32 v36, v36, v39
	v_add_f32_e32 v37, v37, v41
	v_mov_b32_e32 v39, v38
	v_fma_f32 v35, v23, s12, -v35
	v_mul_f32_e32 v8, 0x3f0a6770, v8
	v_mov_b32_e32 v41, v24
	v_fmac_f32_e32 v39, 0xbf7d64f0, v21
	v_add_f32_e32 v35, v35, v40
	v_fmac_f32_e32 v38, 0x3f7d64f0, v21
	v_mov_b32_e32 v40, v8
	v_fmac_f32_e32 v41, 0xbf0a6770, v21
	v_fma_f32 v8, v23, s13, -v8
	v_fmac_f32_e32 v24, 0x3f0a6770, v21
	v_add_f32_e32 v21, v10, v20
	v_sub_f32_e32 v10, v10, v20
	v_fmac_f32_e32 v40, 0x3f575c64, v23
	v_add_f32_e32 v4, v8, v4
	v_add_f32_e32 v8, v9, v19
	v_sub_f32_e32 v9, v9, v19
	v_mul_f32_e32 v19, 0xbf7d64f0, v10
	v_mul_f32_e32 v23, 0xbe11bafb, v21
	v_add_f32_e32 v5, v24, v5
	v_mov_b32_e32 v20, v19
	v_mov_b32_e32 v24, v23
	v_fma_f32 v19, v8, s12, -v19
	v_fmac_f32_e32 v23, 0xbf7d64f0, v9
	v_fmac_f32_e32 v20, 0xbe11bafb, v8
	v_add_f32_e32 v19, v19, v22
	v_add_f32_e32 v22, v23, v26
	v_mul_f32_e32 v23, 0x3e903f40, v10
	v_add_f32_e32 v20, v20, v25
	v_mov_b32_e32 v25, v23
	v_fma_f32 v23, v8, s15, -v23
	v_fmac_f32_e32 v25, 0xbf75a155, v8
	v_add_f32_e32 v23, v23, v27
	v_mul_f32_e32 v27, 0x3f68dda4, v10
	v_fmac_f32_e32 v24, 0x3f7d64f0, v9
	v_add_f32_e32 v25, v25, v29
	v_mul_f32_e32 v26, 0xbf75a155, v21
	v_mov_b32_e32 v29, v27
	v_fma_f32 v27, v8, s3, -v27
	v_add_f32_e32 v24, v24, v28
	v_mov_b32_e32 v28, v26
	v_fmac_f32_e32 v26, 0x3e903f40, v9
	v_fmac_f32_e32 v29, 0x3ed4b147, v8
	v_add_f32_e32 v27, v27, v31
	v_mul_f32_e32 v31, 0xbf0a6770, v10
	v_fmac_f32_e32 v28, 0xbe903f40, v9
	v_add_f32_e32 v26, v26, v30
	v_add_f32_e32 v29, v29, v33
	v_mul_f32_e32 v30, 0x3ed4b147, v21
	v_mov_b32_e32 v33, v31
	v_fma_f32 v31, v8, s13, -v31
	v_mul_f32_e32 v10, 0xbf4178ce, v10
	v_add_f32_e32 v28, v28, v32
	v_mov_b32_e32 v32, v30
	v_fmac_f32_e32 v30, 0x3f68dda4, v9
	v_add_f32_e32 v31, v31, v35
	v_mov_b32_e32 v35, v10
	v_fmac_f32_e32 v32, 0xbf68dda4, v9
	v_add_f32_e32 v30, v30, v34
	v_fmac_f32_e32 v33, 0x3f575c64, v8
	v_mul_f32_e32 v34, 0x3f575c64, v21
	v_fmac_f32_e32 v35, 0xbf27a4f4, v8
	v_mul_f32_e32 v21, 0xbf27a4f4, v21
	v_fma_f32 v8, v8, s14, -v10
	v_add_f32_e32 v32, v32, v36
	v_add_f32_e32 v33, v33, v37
	v_mov_b32_e32 v36, v34
	v_mov_b32_e32 v37, v21
	v_add_f32_e32 v4, v8, v4
	v_add_f32_e32 v8, v11, v17
	v_sub_f32_e32 v10, v11, v17
	v_sub_f32_e32 v11, v12, v18
	v_fmac_f32_e32 v36, 0x3f0a6770, v9
	v_fmac_f32_e32 v34, 0xbf0a6770, v9
	;; [unrolled: 1-line block ×4, first 2 shown]
	v_add_f32_e32 v9, v12, v18
	v_mul_f32_e32 v12, 0xbf4178ce, v11
	v_mov_b32_e32 v17, v12
	v_fmac_f32_e32 v17, 0xbf27a4f4, v8
	v_mul_f32_e32 v18, 0xbf27a4f4, v9
	v_fma_f32 v12, v8, s14, -v12
	v_add_f32_e32 v17, v17, v20
	v_mov_b32_e32 v20, v18
	v_add_f32_e32 v12, v12, v19
	v_fmac_f32_e32 v18, 0xbf4178ce, v10
	v_mul_f32_e32 v19, 0x3f7d64f0, v11
	v_add_f32_e32 v5, v21, v5
	v_fmac_f32_e32 v20, 0x3f4178ce, v10
	v_add_f32_e32 v18, v18, v22
	v_mov_b32_e32 v21, v19
	v_mul_f32_e32 v22, 0xbe11bafb, v9
	v_fma_f32 v19, v8, s12, -v19
	v_add_f32_e32 v20, v20, v24
	v_fmac_f32_e32 v21, 0xbe11bafb, v8
	v_mov_b32_e32 v24, v22
	v_add_f32_e32 v19, v19, v23
	v_fmac_f32_e32 v22, 0x3f7d64f0, v10
	v_mul_f32_e32 v23, 0xbf0a6770, v11
	v_add_f32_e32 v21, v21, v25
	v_fmac_f32_e32 v24, 0xbf7d64f0, v10
	v_add_f32_e32 v22, v22, v26
	v_mov_b32_e32 v25, v23
	v_mul_f32_e32 v26, 0x3f575c64, v9
	v_fma_f32 v23, v8, s13, -v23
	v_add_f32_e32 v24, v24, v28
	v_fmac_f32_e32 v25, 0x3f575c64, v8
	v_mov_b32_e32 v28, v26
	v_add_f32_e32 v23, v23, v27
	v_fmac_f32_e32 v26, 0xbf0a6770, v10
	v_mul_f32_e32 v27, 0xbe903f40, v11
	v_add_f32_e32 v25, v25, v29
	v_fmac_f32_e32 v28, 0x3f0a6770, v10
	v_add_f32_e32 v26, v26, v30
	v_mov_b32_e32 v29, v27
	v_mul_f32_e32 v30, 0xbf75a155, v9
	v_fma_f32 v27, v8, s15, -v27
	v_mul_f32_e32 v11, 0x3f68dda4, v11
	v_add_f32_e32 v39, v39, v43
	v_add_f32_e32 v38, v38, v42
	;; [unrolled: 1-line block ×3, first 2 shown]
	v_fmac_f32_e32 v29, 0xbf75a155, v8
	v_mov_b32_e32 v32, v30
	v_add_f32_e32 v27, v27, v31
	v_mov_b32_e32 v31, v11
	v_mul_f32_e32 v9, 0x3ed4b147, v9
	v_add_f32_e32 v41, v41, v45
	v_add_f32_e32 v36, v36, v39
	;; [unrolled: 1-line block ×4, first 2 shown]
	v_fmac_f32_e32 v32, 0x3e903f40, v10
	v_fmac_f32_e32 v30, 0xbe903f40, v10
	;; [unrolled: 1-line block ×3, first 2 shown]
	v_mov_b32_e32 v33, v9
	v_fma_f32 v8, v8, s3, -v11
	v_sub_f32_e32 v39, v14, v16
	v_add_f32_e32 v40, v40, v44
	v_add_f32_e32 v37, v37, v41
	;; [unrolled: 1-line block ×4, first 2 shown]
	v_fmac_f32_e32 v33, 0xbf68dda4, v10
	v_add_f32_e32 v34, v8, v4
	v_add_f32_e32 v36, v13, v15
	v_mul_f32_e32 v8, 0xbe903f40, v39
	v_add_f32_e32 v35, v35, v40
	v_add_f32_e32 v33, v33, v37
	v_fmac_f32_e32 v9, 0x3f68dda4, v10
	v_add_f32_e32 v37, v14, v16
	v_mov_b32_e32 v4, v8
	v_fma_f32 v8, v36, s15, -v8
	v_add_f32_e32 v31, v31, v35
	v_add_f32_e32 v35, v9, v5
	v_sub_f32_e32 v38, v13, v15
	v_mul_f32_e32 v9, 0xbf75a155, v37
	v_add_f32_e32 v8, v8, v12
	v_mul_f32_e32 v12, 0x3f0a6770, v39
	v_mul_f32_e32 v13, 0x3f575c64, v37
	v_mul_f32_e32 v16, 0xbf4178ce, v39
	v_mov_b32_e32 v5, v9
	v_mov_b32_e32 v10, v12
	;; [unrolled: 1-line block ×4, first 2 shown]
	v_fmac_f32_e32 v4, 0xbf75a155, v36
	v_fmac_f32_e32 v5, 0x3e903f40, v38
	;; [unrolled: 1-line block ×5, first 2 shown]
	v_add_f32_e32 v4, v4, v17
	v_add_f32_e32 v5, v5, v20
	v_fmac_f32_e32 v9, 0xbe903f40, v38
	v_add_f32_e32 v10, v10, v21
	v_add_f32_e32 v11, v11, v24
	v_fma_f32 v12, v36, s13, -v12
	v_fmac_f32_e32 v13, 0x3f0a6770, v38
	v_add_f32_e32 v14, v14, v25
	v_mul_f32_e32 v17, 0xbf27a4f4, v37
	v_fma_f32 v16, v36, s14, -v16
	v_mul_f32_e32 v20, 0x3f68dda4, v39
	v_mul_f32_e32 v21, 0x3ed4b147, v37
	;; [unrolled: 1-line block ×4, first 2 shown]
	v_add_f32_e32 v9, v9, v18
	v_add_f32_e32 v12, v12, v19
	;; [unrolled: 1-line block ×3, first 2 shown]
	v_mov_b32_e32 v15, v17
	v_add_f32_e32 v16, v16, v23
	v_mov_b32_e32 v18, v20
	v_mov_b32_e32 v19, v21
	;; [unrolled: 1-line block ×4, first 2 shown]
	s_movk_i32 s2, 0x1000
	v_fmac_f32_e32 v15, 0x3f4178ce, v38
	v_fmac_f32_e32 v17, 0xbf4178ce, v38
	;; [unrolled: 1-line block ×4, first 2 shown]
	v_fma_f32 v20, v36, s3, -v20
	v_fmac_f32_e32 v21, 0x3f68dda4, v38
	v_fmac_f32_e32 v22, 0xbe11bafb, v36
	;; [unrolled: 1-line block ×3, first 2 shown]
	v_fma_f32 v24, v36, s12, -v24
	v_fmac_f32_e32 v25, 0xbf7d64f0, v38
	v_add_f32_e32 v15, v15, v28
	v_add_f32_e32 v17, v17, v26
	;; [unrolled: 1-line block ×10, first 2 shown]
	ds_write2_b64 v73, v[6:7], v[4:5] offset1:143
	ds_write2_b64 v2, v[10:11], v[14:15] offset0:30 offset1:173
	ds_write2_b64 v1, v[18:19], v[22:23] offset0:60 offset1:203
	;; [unrolled: 1-line block ×4, first 2 shown]
	ds_write_b64 v73, v[8:9] offset:11440
	s_waitcnt lgkmcnt(0)
	s_barrier
	s_and_b64 exec, exec, s[0:1]
	s_cbranch_execz .LBB0_15
; %bb.14:
	global_load_dwordx2 v[11:12], v73, s[10:11]
	global_load_dwordx2 v[13:14], v73, s[10:11] offset:968
	global_load_dwordx2 v[15:16], v73, s[10:11] offset:1936
	;; [unrolled: 1-line block ×3, first 2 shown]
	ds_read_b64 v[19:20], v73
	global_load_dwordx2 v[25:26], v73, s[10:11] offset:3872
	v_mad_u64_u32 v[21:22], s[0:1], s6, v64, 0
	ds_read2_b64 v[3:6], v73 offset0:121 offset1:242
	v_mad_u64_u32 v[23:24], s[12:13], s4, v74, 0
	v_mov_b32_e32 v27, s11
	v_add_co_u32_e32 v40, vcc, s10, v73
	v_mov_b32_e32 v39, s9
	s_mul_i32 s6, s5, 0x3c8
	s_mul_hi_u32 s9, s4, 0x3c8
	ds_read2_b64 v[7:10], v2 offset0:107 offset1:228
	v_addc_co_u32_e32 v41, vcc, 0, v27, vcc
	v_mov_b32_e32 v2, v22
	s_mul_i32 s3, s4, 0x3c8
	s_add_i32 s4, s9, s6
	v_add_co_u32_e32 v27, vcc, s2, v40
	v_mov_b32_e32 v22, v24
	s_waitcnt lgkmcnt(1)
	v_mad_u64_u32 v[29:30], s[6:7], s7, v64, v[2:3]
	v_addc_co_u32_e32 v28, vcc, 0, v41, vcc
	v_mad_u64_u32 v[30:31], s[6:7], s5, v74, v[22:23]
	global_load_dwordx2 v[31:32], v[27:28], off offset:744
	global_load_dwordx2 v[33:34], v[27:28], off offset:1712
	;; [unrolled: 1-line block ×4, first 2 shown]
	v_mov_b32_e32 v22, v29
	v_lshlrev_b64 v[21:22], 3, v[21:22]
	v_mov_b32_e32 v24, v30
	v_lshlrev_b64 v[23:24], 3, v[23:24]
	v_add_co_u32_e32 v2, vcc, s8, v21
	v_addc_co_u32_e32 v22, vcc, v39, v22, vcc
	v_add_co_u32_e32 v21, vcc, v2, v23
	s_mov_b32 s0, 0x49b95e3b
	s_mov_b32 s1, 0x3f44d4df
	v_addc_co_u32_e32 v22, vcc, v22, v24, vcc
	v_mov_b32_e32 v42, s4
	v_add_co_u32_e32 v23, vcc, s3, v21
	v_addc_co_u32_e32 v24, vcc, v22, v42, vcc
	v_mov_b32_e32 v43, s4
	s_movk_i32 s2, 0x2000
	s_waitcnt vmcnt(8)
	v_mul_f32_e32 v2, v20, v12
	v_mul_f32_e32 v12, v19, v12
	s_waitcnt vmcnt(7)
	v_mul_f32_e32 v27, v4, v14
	v_mul_f32_e32 v14, v3, v14
	s_waitcnt vmcnt(6)
	v_mul_f32_e32 v28, v6, v16
	v_fmac_f32_e32 v2, v19, v11
	v_fma_f32 v11, v11, v20, -v12
	v_mul_f32_e32 v16, v5, v16
	s_waitcnt vmcnt(5) lgkmcnt(0)
	v_mul_f32_e32 v29, v8, v18
	v_fmac_f32_e32 v27, v3, v13
	v_fma_f32 v12, v13, v4, -v14
	v_fmac_f32_e32 v28, v5, v15
	v_cvt_f64_f32_e32 v[2:3], v2
	v_cvt_f64_f32_e32 v[4:5], v11
	v_mul_f32_e32 v18, v7, v18
	v_fma_f32 v15, v15, v6, -v16
	v_fmac_f32_e32 v29, v7, v17
	v_cvt_f64_f32_e32 v[6:7], v27
	v_cvt_f64_f32_e32 v[11:12], v12
	v_mul_f64 v[2:3], v[2:3], s[0:1]
	v_mul_f64 v[4:5], v[4:5], s[0:1]
	;; [unrolled: 1-line block ×4, first 2 shown]
	v_cvt_f64_f32_e32 v[13:14], v28
	v_cvt_f64_f32_e32 v[15:16], v15
	v_fma_f32 v8, v17, v8, -v18
	v_cvt_f64_f32_e32 v[17:18], v29
	v_mul_f64 v[13:14], v[13:14], s[0:1]
	v_mul_f64 v[15:16], v[15:16], s[0:1]
	v_cvt_f64_f32_e32 v[19:20], v8
	v_cvt_f32_f64_e32 v2, v[2:3]
	v_cvt_f32_f64_e32 v3, v[4:5]
	;; [unrolled: 1-line block ×4, first 2 shown]
	v_mul_f64 v[17:18], v[17:18], s[0:1]
	v_mul_f64 v[19:20], v[19:20], s[0:1]
	global_store_dwordx2 v[21:22], v[2:3], off
	global_store_dwordx2 v[23:24], v[4:5], off
	s_waitcnt vmcnt(6)
	v_mul_f32_e32 v2, v10, v26
	v_add_co_u32_e32 v11, vcc, s3, v23
	v_fmac_f32_e32 v2, v9, v25
	v_cvt_f32_f64_e32 v6, v[13:14]
	v_cvt_f32_f64_e32 v7, v[15:16]
	v_addc_co_u32_e32 v12, vcc, v24, v43, vcc
	v_cvt_f64_f32_e32 v[2:3], v2
	v_add_co_u32_e32 v13, vcc, s2, v40
	v_addc_co_u32_e32 v14, vcc, 0, v41, vcc
	global_load_dwordx2 v[15:16], v[13:14], off offset:520
	v_cvt_f32_f64_e32 v5, v[17:18]
	global_store_dwordx2 v[11:12], v[6:7], off
	v_mul_f64 v[7:8], v[2:3], s[0:1]
	v_mul_f32_e32 v2, v9, v26
	v_fma_f32 v2, v25, v10, -v2
	v_cvt_f32_f64_e32 v6, v[19:20]
	v_cvt_f64_f32_e32 v[9:10], v2
	v_mov_b32_e32 v17, s4
	v_add_co_u32_e32 v11, vcc, s3, v11
	v_addc_co_u32_e32 v12, vcc, v12, v17, vcc
	global_store_dwordx2 v[11:12], v[5:6], off
	v_mul_f64 v[5:6], v[9:10], s[0:1]
	ds_read2_b64 v[1:4], v1 offset0:93 offset1:214
	v_cvt_f32_f64_e32 v7, v[7:8]
	v_add_co_u32_e32 v11, vcc, s3, v11
	v_addc_co_u32_e32 v12, vcc, v12, v17, vcc
	s_waitcnt vmcnt(8) lgkmcnt(0)
	v_mul_f32_e32 v8, v2, v32
	v_fmac_f32_e32 v8, v1, v31
	v_cvt_f64_f32_e32 v[9:10], v8
	v_cvt_f32_f64_e32 v8, v[5:6]
	global_load_dwordx2 v[5:6], v[13:14], off offset:1488
	global_load_dwordx2 v[17:18], v[13:14], off offset:2456
	v_mul_f32_e32 v1, v1, v32
	v_fma_f32 v1, v31, v2, -v1
	v_cvt_f64_f32_e32 v[1:2], v1
	v_mul_f64 v[9:10], v[9:10], s[0:1]
	global_store_dwordx2 v[11:12], v[7:8], off
	v_mov_b32_e32 v21, s4
	v_mul_f64 v[1:2], v[1:2], s[0:1]
	v_add_co_u32_e32 v11, vcc, s3, v11
	v_addc_co_u32_e32 v12, vcc, v12, v21, vcc
	v_cvt_f32_f64_e32 v7, v[9:10]
	v_cvt_f32_f64_e32 v8, v[1:2]
	s_waitcnt vmcnt(10)
	v_mul_f32_e32 v1, v4, v34
	v_fmac_f32_e32 v1, v3, v33
	v_cvt_f64_f32_e32 v[9:10], v1
	v_mul_f32_e32 v1, v3, v34
	v_fma_f32 v1, v33, v4, -v1
	v_cvt_f64_f32_e32 v[19:20], v1
	ds_read2_b64 v[0:3], v0 offset0:79 offset1:200
	global_store_dwordx2 v[11:12], v[7:8], off
	v_mul_f64 v[7:8], v[9:10], s[0:1]
	v_mul_f64 v[9:10], v[19:20], s[0:1]
	v_add_co_u32_e32 v11, vcc, s3, v11
	s_waitcnt vmcnt(10) lgkmcnt(0)
	v_mul_f32_e32 v4, v1, v36
	v_fmac_f32_e32 v4, v0, v35
	v_mul_f32_e32 v0, v0, v36
	v_fma_f32 v0, v35, v1, -v0
	v_cvt_f64_f32_e32 v[0:1], v0
	v_cvt_f64_f32_e32 v[19:20], v4
	v_cvt_f32_f64_e32 v7, v[7:8]
	v_cvt_f32_f64_e32 v8, v[9:10]
	v_mul_f64 v[0:1], v[0:1], s[0:1]
	v_mul_f64 v[9:10], v[19:20], s[0:1]
	v_mov_b32_e32 v4, s4
	v_addc_co_u32_e32 v12, vcc, v12, v4, vcc
	global_store_dwordx2 v[11:12], v[7:8], off
	v_add_co_u32_e32 v11, vcc, s3, v11
	v_cvt_f32_f64_e32 v8, v[0:1]
	s_waitcnt vmcnt(10)
	v_mul_f32_e32 v0, v3, v38
	v_fmac_f32_e32 v0, v2, v37
	v_cvt_f32_f64_e32 v7, v[9:10]
	v_cvt_f64_f32_e32 v[9:10], v0
	v_mul_f32_e32 v0, v2, v38
	v_fma_f32 v0, v37, v3, -v0
	v_cvt_f64_f32_e32 v[19:20], v0
	v_add_u32_e32 v0, 0x2000, v73
	ds_read2_b64 v[0:3], v0 offset0:65 offset1:186
	v_addc_co_u32_e32 v12, vcc, v12, v4, vcc
	global_store_dwordx2 v[11:12], v[7:8], off
	v_mul_f64 v[7:8], v[9:10], s[0:1]
	s_waitcnt vmcnt(8) lgkmcnt(0)
	v_mul_f32_e32 v4, v1, v16
	v_mul_f64 v[9:10], v[19:20], s[0:1]
	v_fmac_f32_e32 v4, v0, v15
	v_mul_f32_e32 v0, v0, v16
	v_fma_f32 v0, v15, v1, -v0
	v_cvt_f64_f32_e32 v[0:1], v0
	v_cvt_f64_f32_e32 v[19:20], v4
	v_cvt_f32_f64_e32 v7, v[7:8]
	v_mov_b32_e32 v4, s4
	v_mul_f64 v[0:1], v[0:1], s[0:1]
	v_cvt_f32_f64_e32 v8, v[9:10]
	v_mul_f64 v[9:10], v[19:20], s[0:1]
	v_add_co_u32_e32 v11, vcc, s3, v11
	v_addc_co_u32_e32 v12, vcc, v12, v4, vcc
	global_store_dwordx2 v[11:12], v[7:8], off
	v_cvt_f32_f64_e32 v8, v[0:1]
	v_mov_b32_e32 v15, s4
	v_cvt_f32_f64_e32 v7, v[9:10]
	v_add_co_u32_e32 v11, vcc, s3, v11
	s_waitcnt vmcnt(6)
	v_mul_f32_e32 v0, v3, v6
	v_fmac_f32_e32 v0, v2, v5
	v_cvt_f64_f32_e32 v[9:10], v0
	v_mul_f32_e32 v0, v2, v6
	v_fma_f32 v0, v5, v3, -v0
	v_cvt_f64_f32_e32 v[4:5], v0
	v_add_u32_e32 v0, 0x2800, v73
	ds_read2_b64 v[0:3], v0 offset0:51 offset1:172
	v_addc_co_u32_e32 v12, vcc, v12, v15, vcc
	global_store_dwordx2 v[11:12], v[7:8], off
	v_mul_f64 v[6:7], v[9:10], s[0:1]
	v_mul_f64 v[4:5], v[4:5], s[0:1]
	s_waitcnt vmcnt(6) lgkmcnt(0)
	v_mul_f32_e32 v8, v1, v18
	v_fmac_f32_e32 v8, v0, v17
	v_mul_f32_e32 v0, v0, v18
	v_fma_f32 v0, v17, v1, -v0
	v_cvt_f64_f32_e32 v[8:9], v8
	v_cvt_f64_f32_e32 v[0:1], v0
	v_cvt_f32_f64_e32 v6, v[6:7]
	v_cvt_f32_f64_e32 v7, v[4:5]
	v_mul_f64 v[4:5], v[8:9], s[0:1]
	v_mul_f64 v[0:1], v[0:1], s[0:1]
	v_mov_b32_e32 v9, s4
	v_add_co_u32_e32 v8, vcc, s3, v11
	v_addc_co_u32_e32 v9, vcc, v12, v9, vcc
	global_store_dwordx2 v[8:9], v[6:7], off
	v_cvt_f32_f64_e32 v4, v[4:5]
	v_cvt_f32_f64_e32 v5, v[0:1]
	v_mov_b32_e32 v1, s4
	v_add_co_u32_e32 v0, vcc, s3, v8
	v_addc_co_u32_e32 v1, vcc, v9, v1, vcc
	global_store_dwordx2 v[0:1], v[4:5], off
	global_load_dwordx2 v[4:5], v[13:14], off offset:3424
	v_add_co_u32_e32 v0, vcc, s3, v0
	s_waitcnt vmcnt(0)
	v_mul_f32_e32 v6, v3, v5
	v_fmac_f32_e32 v6, v2, v4
	v_mul_f32_e32 v2, v2, v5
	v_fma_f32 v2, v4, v3, -v2
	v_cvt_f64_f32_e32 v[6:7], v6
	v_cvt_f64_f32_e32 v[2:3], v2
	v_mul_f64 v[4:5], v[6:7], s[0:1]
	v_mul_f64 v[2:3], v[2:3], s[0:1]
	v_cvt_f32_f64_e32 v4, v[4:5]
	v_cvt_f32_f64_e32 v5, v[2:3]
	v_mov_b32_e32 v2, s4
	v_addc_co_u32_e32 v1, vcc, v1, v2, vcc
	global_store_dwordx2 v[0:1], v[4:5], off
.LBB0_15:
	s_endpgm
	.section	.rodata,"a",@progbits
	.p2align	6, 0x0
	.amdhsa_kernel bluestein_single_back_len1573_dim1_sp_op_CI_CI
		.amdhsa_group_segment_fixed_size 12584
		.amdhsa_private_segment_fixed_size 0
		.amdhsa_kernarg_size 104
		.amdhsa_user_sgpr_count 6
		.amdhsa_user_sgpr_private_segment_buffer 1
		.amdhsa_user_sgpr_dispatch_ptr 0
		.amdhsa_user_sgpr_queue_ptr 0
		.amdhsa_user_sgpr_kernarg_segment_ptr 1
		.amdhsa_user_sgpr_dispatch_id 0
		.amdhsa_user_sgpr_flat_scratch_init 0
		.amdhsa_user_sgpr_private_segment_size 0
		.amdhsa_uses_dynamic_stack 0
		.amdhsa_system_sgpr_private_segment_wavefront_offset 0
		.amdhsa_system_sgpr_workgroup_id_x 1
		.amdhsa_system_sgpr_workgroup_id_y 0
		.amdhsa_system_sgpr_workgroup_id_z 0
		.amdhsa_system_sgpr_workgroup_info 0
		.amdhsa_system_vgpr_workitem_id 0
		.amdhsa_next_free_vgpr 160
		.amdhsa_next_free_sgpr 18
		.amdhsa_reserve_vcc 1
		.amdhsa_reserve_flat_scratch 0
		.amdhsa_float_round_mode_32 0
		.amdhsa_float_round_mode_16_64 0
		.amdhsa_float_denorm_mode_32 3
		.amdhsa_float_denorm_mode_16_64 3
		.amdhsa_dx10_clamp 1
		.amdhsa_ieee_mode 1
		.amdhsa_fp16_overflow 0
		.amdhsa_exception_fp_ieee_invalid_op 0
		.amdhsa_exception_fp_denorm_src 0
		.amdhsa_exception_fp_ieee_div_zero 0
		.amdhsa_exception_fp_ieee_overflow 0
		.amdhsa_exception_fp_ieee_underflow 0
		.amdhsa_exception_fp_ieee_inexact 0
		.amdhsa_exception_int_div_zero 0
	.end_amdhsa_kernel
	.text
.Lfunc_end0:
	.size	bluestein_single_back_len1573_dim1_sp_op_CI_CI, .Lfunc_end0-bluestein_single_back_len1573_dim1_sp_op_CI_CI
                                        ; -- End function
	.section	.AMDGPU.csdata,"",@progbits
; Kernel info:
; codeLenInByte = 18312
; NumSgprs: 22
; NumVgprs: 160
; ScratchSize: 0
; MemoryBound: 0
; FloatMode: 240
; IeeeMode: 1
; LDSByteSize: 12584 bytes/workgroup (compile time only)
; SGPRBlocks: 2
; VGPRBlocks: 39
; NumSGPRsForWavesPerEU: 22
; NumVGPRsForWavesPerEU: 160
; Occupancy: 1
; WaveLimiterHint : 1
; COMPUTE_PGM_RSRC2:SCRATCH_EN: 0
; COMPUTE_PGM_RSRC2:USER_SGPR: 6
; COMPUTE_PGM_RSRC2:TRAP_HANDLER: 0
; COMPUTE_PGM_RSRC2:TGID_X_EN: 1
; COMPUTE_PGM_RSRC2:TGID_Y_EN: 0
; COMPUTE_PGM_RSRC2:TGID_Z_EN: 0
; COMPUTE_PGM_RSRC2:TIDIG_COMP_CNT: 0
	.type	__hip_cuid_bd085e8c16e378cf,@object ; @__hip_cuid_bd085e8c16e378cf
	.section	.bss,"aw",@nobits
	.globl	__hip_cuid_bd085e8c16e378cf
__hip_cuid_bd085e8c16e378cf:
	.byte	0                               ; 0x0
	.size	__hip_cuid_bd085e8c16e378cf, 1

	.ident	"AMD clang version 19.0.0git (https://github.com/RadeonOpenCompute/llvm-project roc-6.4.0 25133 c7fe45cf4b819c5991fe208aaa96edf142730f1d)"
	.section	".note.GNU-stack","",@progbits
	.addrsig
	.addrsig_sym __hip_cuid_bd085e8c16e378cf
	.amdgpu_metadata
---
amdhsa.kernels:
  - .args:
      - .actual_access:  read_only
        .address_space:  global
        .offset:         0
        .size:           8
        .value_kind:     global_buffer
      - .actual_access:  read_only
        .address_space:  global
        .offset:         8
        .size:           8
        .value_kind:     global_buffer
      - .actual_access:  read_only
        .address_space:  global
        .offset:         16
        .size:           8
        .value_kind:     global_buffer
      - .actual_access:  read_only
        .address_space:  global
        .offset:         24
        .size:           8
        .value_kind:     global_buffer
      - .actual_access:  read_only
        .address_space:  global
        .offset:         32
        .size:           8
        .value_kind:     global_buffer
      - .offset:         40
        .size:           8
        .value_kind:     by_value
      - .address_space:  global
        .offset:         48
        .size:           8
        .value_kind:     global_buffer
      - .address_space:  global
        .offset:         56
        .size:           8
        .value_kind:     global_buffer
      - .address_space:  global
        .offset:         64
        .size:           8
        .value_kind:     global_buffer
      - .address_space:  global
        .offset:         72
        .size:           8
        .value_kind:     global_buffer
      - .offset:         80
        .size:           4
        .value_kind:     by_value
      - .address_space:  global
        .offset:         88
        .size:           8
        .value_kind:     global_buffer
      - .address_space:  global
        .offset:         96
        .size:           8
        .value_kind:     global_buffer
    .group_segment_fixed_size: 12584
    .kernarg_segment_align: 8
    .kernarg_segment_size: 104
    .language:       OpenCL C
    .language_version:
      - 2
      - 0
    .max_flat_workgroup_size: 143
    .name:           bluestein_single_back_len1573_dim1_sp_op_CI_CI
    .private_segment_fixed_size: 0
    .sgpr_count:     22
    .sgpr_spill_count: 0
    .symbol:         bluestein_single_back_len1573_dim1_sp_op_CI_CI.kd
    .uniform_work_group_size: 1
    .uses_dynamic_stack: false
    .vgpr_count:     160
    .vgpr_spill_count: 0
    .wavefront_size: 64
amdhsa.target:   amdgcn-amd-amdhsa--gfx906
amdhsa.version:
  - 1
  - 2
...

	.end_amdgpu_metadata
